;; amdgpu-corpus repo=ROCm/rocSPARSE kind=compiled arch=gfx1250 opt=O3
	.amdgcn_target "amdgcn-amd-amdhsa--gfx1250"
	.amdhsa_code_object_version 6
	.section	.text._ZN9rocsparseL22csr2csc_permute_kernelILj512EiiaEEvT0_PKT1_PKT2_PKS1_PS2_PS5_,"axG",@progbits,_ZN9rocsparseL22csr2csc_permute_kernelILj512EiiaEEvT0_PKT1_PKT2_PKS1_PS2_PS5_,comdat
	.globl	_ZN9rocsparseL22csr2csc_permute_kernelILj512EiiaEEvT0_PKT1_PKT2_PKS1_PS2_PS5_ ; -- Begin function _ZN9rocsparseL22csr2csc_permute_kernelILj512EiiaEEvT0_PKT1_PKT2_PKS1_PS2_PS5_
	.p2align	8
	.type	_ZN9rocsparseL22csr2csc_permute_kernelILj512EiiaEEvT0_PKT1_PKT2_PKS1_PS2_PS5_,@function
_ZN9rocsparseL22csr2csc_permute_kernelILj512EiiaEEvT0_PKT1_PKT2_PKS1_PS2_PS5_: ; @_ZN9rocsparseL22csr2csc_permute_kernelILj512EiiaEEvT0_PKT1_PKT2_PKS1_PS2_PS5_
; %bb.0:
	s_load_b32 s2, s[0:1], 0x0
	s_bfe_u32 s3, ttmp6, 0x4000c
	s_and_b32 s4, ttmp6, 15
	s_add_co_i32 s3, s3, 1
	s_getreg_b32 s5, hwreg(HW_REG_IB_STS2, 6, 4)
	s_mul_i32 s3, ttmp9, s3
	s_delay_alu instid0(SALU_CYCLE_1) | instskip(SKIP_2) | instid1(SALU_CYCLE_1)
	s_add_co_i32 s4, s4, s3
	s_cmp_eq_u32 s5, 0
	s_cselect_b32 s3, ttmp9, s4
	v_lshl_or_b32 v0, s3, 9, v0
	s_wait_kmcnt 0x0
	s_delay_alu instid0(VALU_DEP_1)
	v_cmp_gt_i32_e32 vcc_lo, s2, v0
	s_and_saveexec_b32 s2, vcc_lo
	s_cbranch_execz .LBB0_2
; %bb.1:
	s_load_b256 s[4:11], s[0:1], 0x8
	s_wait_kmcnt 0x0
	global_load_b32 v1, v0, s[8:9] scale_offset
	s_load_b64 s[0:1], s[0:1], 0x28
	s_wait_loadcnt 0x0
	s_clause 0x1
	global_load_b32 v2, v1, s[4:5] scale_offset
	global_load_u8 v3, v1, s[6:7]
	s_wait_loadcnt 0x1
	global_store_b32 v0, v2, s[10:11] scale_offset
	s_wait_loadcnt 0x0
	s_wait_kmcnt 0x0
	global_store_b8 v0, v3, s[0:1]
.LBB0_2:
	s_endpgm
	.section	.rodata,"a",@progbits
	.p2align	6, 0x0
	.amdhsa_kernel _ZN9rocsparseL22csr2csc_permute_kernelILj512EiiaEEvT0_PKT1_PKT2_PKS1_PS2_PS5_
		.amdhsa_group_segment_fixed_size 0
		.amdhsa_private_segment_fixed_size 0
		.amdhsa_kernarg_size 48
		.amdhsa_user_sgpr_count 2
		.amdhsa_user_sgpr_dispatch_ptr 0
		.amdhsa_user_sgpr_queue_ptr 0
		.amdhsa_user_sgpr_kernarg_segment_ptr 1
		.amdhsa_user_sgpr_dispatch_id 0
		.amdhsa_user_sgpr_kernarg_preload_length 0
		.amdhsa_user_sgpr_kernarg_preload_offset 0
		.amdhsa_user_sgpr_private_segment_size 0
		.amdhsa_wavefront_size32 1
		.amdhsa_uses_dynamic_stack 0
		.amdhsa_enable_private_segment 0
		.amdhsa_system_sgpr_workgroup_id_x 1
		.amdhsa_system_sgpr_workgroup_id_y 0
		.amdhsa_system_sgpr_workgroup_id_z 0
		.amdhsa_system_sgpr_workgroup_info 0
		.amdhsa_system_vgpr_workitem_id 0
		.amdhsa_next_free_vgpr 4
		.amdhsa_next_free_sgpr 12
		.amdhsa_named_barrier_count 0
		.amdhsa_reserve_vcc 1
		.amdhsa_float_round_mode_32 0
		.amdhsa_float_round_mode_16_64 0
		.amdhsa_float_denorm_mode_32 3
		.amdhsa_float_denorm_mode_16_64 3
		.amdhsa_fp16_overflow 0
		.amdhsa_memory_ordered 1
		.amdhsa_forward_progress 1
		.amdhsa_inst_pref_size 2
		.amdhsa_round_robin_scheduling 0
		.amdhsa_exception_fp_ieee_invalid_op 0
		.amdhsa_exception_fp_denorm_src 0
		.amdhsa_exception_fp_ieee_div_zero 0
		.amdhsa_exception_fp_ieee_overflow 0
		.amdhsa_exception_fp_ieee_underflow 0
		.amdhsa_exception_fp_ieee_inexact 0
		.amdhsa_exception_int_div_zero 0
	.end_amdhsa_kernel
	.section	.text._ZN9rocsparseL22csr2csc_permute_kernelILj512EiiaEEvT0_PKT1_PKT2_PKS1_PS2_PS5_,"axG",@progbits,_ZN9rocsparseL22csr2csc_permute_kernelILj512EiiaEEvT0_PKT1_PKT2_PKS1_PS2_PS5_,comdat
.Lfunc_end0:
	.size	_ZN9rocsparseL22csr2csc_permute_kernelILj512EiiaEEvT0_PKT1_PKT2_PKS1_PS2_PS5_, .Lfunc_end0-_ZN9rocsparseL22csr2csc_permute_kernelILj512EiiaEEvT0_PKT1_PKT2_PKS1_PS2_PS5_
                                        ; -- End function
	.set _ZN9rocsparseL22csr2csc_permute_kernelILj512EiiaEEvT0_PKT1_PKT2_PKS1_PS2_PS5_.num_vgpr, 4
	.set _ZN9rocsparseL22csr2csc_permute_kernelILj512EiiaEEvT0_PKT1_PKT2_PKS1_PS2_PS5_.num_agpr, 0
	.set _ZN9rocsparseL22csr2csc_permute_kernelILj512EiiaEEvT0_PKT1_PKT2_PKS1_PS2_PS5_.numbered_sgpr, 12
	.set _ZN9rocsparseL22csr2csc_permute_kernelILj512EiiaEEvT0_PKT1_PKT2_PKS1_PS2_PS5_.num_named_barrier, 0
	.set _ZN9rocsparseL22csr2csc_permute_kernelILj512EiiaEEvT0_PKT1_PKT2_PKS1_PS2_PS5_.private_seg_size, 0
	.set _ZN9rocsparseL22csr2csc_permute_kernelILj512EiiaEEvT0_PKT1_PKT2_PKS1_PS2_PS5_.uses_vcc, 1
	.set _ZN9rocsparseL22csr2csc_permute_kernelILj512EiiaEEvT0_PKT1_PKT2_PKS1_PS2_PS5_.uses_flat_scratch, 0
	.set _ZN9rocsparseL22csr2csc_permute_kernelILj512EiiaEEvT0_PKT1_PKT2_PKS1_PS2_PS5_.has_dyn_sized_stack, 0
	.set _ZN9rocsparseL22csr2csc_permute_kernelILj512EiiaEEvT0_PKT1_PKT2_PKS1_PS2_PS5_.has_recursion, 0
	.set _ZN9rocsparseL22csr2csc_permute_kernelILj512EiiaEEvT0_PKT1_PKT2_PKS1_PS2_PS5_.has_indirect_call, 0
	.section	.AMDGPU.csdata,"",@progbits
; Kernel info:
; codeLenInByte = 180
; TotalNumSgprs: 14
; NumVgprs: 4
; ScratchSize: 0
; MemoryBound: 0
; FloatMode: 240
; IeeeMode: 1
; LDSByteSize: 0 bytes/workgroup (compile time only)
; SGPRBlocks: 0
; VGPRBlocks: 0
; NumSGPRsForWavesPerEU: 14
; NumVGPRsForWavesPerEU: 4
; NamedBarCnt: 0
; Occupancy: 16
; WaveLimiterHint : 1
; COMPUTE_PGM_RSRC2:SCRATCH_EN: 0
; COMPUTE_PGM_RSRC2:USER_SGPR: 2
; COMPUTE_PGM_RSRC2:TRAP_HANDLER: 0
; COMPUTE_PGM_RSRC2:TGID_X_EN: 1
; COMPUTE_PGM_RSRC2:TGID_Y_EN: 0
; COMPUTE_PGM_RSRC2:TGID_Z_EN: 0
; COMPUTE_PGM_RSRC2:TIDIG_COMP_CNT: 0
	.section	.text._ZN9rocsparseL22csr2csc_permute_kernelILj512EliaEEvT0_PKT1_PKT2_PKS1_PS2_PS5_,"axG",@progbits,_ZN9rocsparseL22csr2csc_permute_kernelILj512EliaEEvT0_PKT1_PKT2_PKS1_PS2_PS5_,comdat
	.globl	_ZN9rocsparseL22csr2csc_permute_kernelILj512EliaEEvT0_PKT1_PKT2_PKS1_PS2_PS5_ ; -- Begin function _ZN9rocsparseL22csr2csc_permute_kernelILj512EliaEEvT0_PKT1_PKT2_PKS1_PS2_PS5_
	.p2align	8
	.type	_ZN9rocsparseL22csr2csc_permute_kernelILj512EliaEEvT0_PKT1_PKT2_PKS1_PS2_PS5_,@function
_ZN9rocsparseL22csr2csc_permute_kernelILj512EliaEEvT0_PKT1_PKT2_PKS1_PS2_PS5_: ; @_ZN9rocsparseL22csr2csc_permute_kernelILj512EliaEEvT0_PKT1_PKT2_PKS1_PS2_PS5_
; %bb.0:
	s_bfe_u32 s4, ttmp6, 0x4000c
	s_load_b64 s[2:3], s[0:1], 0x0
	s_add_co_i32 s4, s4, 1
	s_and_b32 s5, ttmp6, 15
	s_mul_i32 s4, ttmp9, s4
	s_getreg_b32 s6, hwreg(HW_REG_IB_STS2, 6, 4)
	s_add_co_i32 s5, s5, s4
	s_cmp_eq_u32 s6, 0
	s_cselect_b32 s4, ttmp9, s5
	s_delay_alu instid0(SALU_CYCLE_1) | instskip(NEXT) | instid1(VALU_DEP_1)
	v_lshl_or_b32 v0, s4, 9, v0
	v_ashrrev_i32_e32 v1, 31, v0
	s_wait_kmcnt 0x0
	s_delay_alu instid0(VALU_DEP_1)
	v_cmp_gt_i64_e32 vcc_lo, s[2:3], v[0:1]
	s_and_saveexec_b32 s2, vcc_lo
	s_cbranch_execz .LBB1_2
; %bb.1:
	s_load_b256 s[4:11], s[0:1], 0x8
	s_wait_kmcnt 0x0
	v_lshl_add_u64 v[2:3], v[0:1], 3, s[8:9]
	s_load_b64 s[0:1], s[0:1], 0x28
	global_load_b64 v[2:3], v[2:3], off
	s_wait_loadcnt 0x0
	v_add_nc_u64_e32 v[4:5], s[6:7], v[2:3]
	v_lshl_add_u64 v[2:3], v[2:3], 2, s[4:5]
	global_load_b32 v6, v[2:3], off
	global_load_u8 v7, v[4:5], off
	s_wait_kmcnt 0x0
	v_add_nc_u64_e32 v[2:3], s[0:1], v[0:1]
	v_lshl_add_u64 v[0:1], v[0:1], 2, s[10:11]
	s_wait_loadcnt 0x1
	global_store_b32 v[0:1], v6, off
	s_wait_loadcnt 0x0
	global_store_b8 v[2:3], v7, off
.LBB1_2:
	s_endpgm
	.section	.rodata,"a",@progbits
	.p2align	6, 0x0
	.amdhsa_kernel _ZN9rocsparseL22csr2csc_permute_kernelILj512EliaEEvT0_PKT1_PKT2_PKS1_PS2_PS5_
		.amdhsa_group_segment_fixed_size 0
		.amdhsa_private_segment_fixed_size 0
		.amdhsa_kernarg_size 48
		.amdhsa_user_sgpr_count 2
		.amdhsa_user_sgpr_dispatch_ptr 0
		.amdhsa_user_sgpr_queue_ptr 0
		.amdhsa_user_sgpr_kernarg_segment_ptr 1
		.amdhsa_user_sgpr_dispatch_id 0
		.amdhsa_user_sgpr_kernarg_preload_length 0
		.amdhsa_user_sgpr_kernarg_preload_offset 0
		.amdhsa_user_sgpr_private_segment_size 0
		.amdhsa_wavefront_size32 1
		.amdhsa_uses_dynamic_stack 0
		.amdhsa_enable_private_segment 0
		.amdhsa_system_sgpr_workgroup_id_x 1
		.amdhsa_system_sgpr_workgroup_id_y 0
		.amdhsa_system_sgpr_workgroup_id_z 0
		.amdhsa_system_sgpr_workgroup_info 0
		.amdhsa_system_vgpr_workitem_id 0
		.amdhsa_next_free_vgpr 8
		.amdhsa_next_free_sgpr 12
		.amdhsa_named_barrier_count 0
		.amdhsa_reserve_vcc 1
		.amdhsa_float_round_mode_32 0
		.amdhsa_float_round_mode_16_64 0
		.amdhsa_float_denorm_mode_32 3
		.amdhsa_float_denorm_mode_16_64 3
		.amdhsa_fp16_overflow 0
		.amdhsa_memory_ordered 1
		.amdhsa_forward_progress 1
		.amdhsa_inst_pref_size 2
		.amdhsa_round_robin_scheduling 0
		.amdhsa_exception_fp_ieee_invalid_op 0
		.amdhsa_exception_fp_denorm_src 0
		.amdhsa_exception_fp_ieee_div_zero 0
		.amdhsa_exception_fp_ieee_overflow 0
		.amdhsa_exception_fp_ieee_underflow 0
		.amdhsa_exception_fp_ieee_inexact 0
		.amdhsa_exception_int_div_zero 0
	.end_amdhsa_kernel
	.section	.text._ZN9rocsparseL22csr2csc_permute_kernelILj512EliaEEvT0_PKT1_PKT2_PKS1_PS2_PS5_,"axG",@progbits,_ZN9rocsparseL22csr2csc_permute_kernelILj512EliaEEvT0_PKT1_PKT2_PKS1_PS2_PS5_,comdat
.Lfunc_end1:
	.size	_ZN9rocsparseL22csr2csc_permute_kernelILj512EliaEEvT0_PKT1_PKT2_PKS1_PS2_PS5_, .Lfunc_end1-_ZN9rocsparseL22csr2csc_permute_kernelILj512EliaEEvT0_PKT1_PKT2_PKS1_PS2_PS5_
                                        ; -- End function
	.set _ZN9rocsparseL22csr2csc_permute_kernelILj512EliaEEvT0_PKT1_PKT2_PKS1_PS2_PS5_.num_vgpr, 8
	.set _ZN9rocsparseL22csr2csc_permute_kernelILj512EliaEEvT0_PKT1_PKT2_PKS1_PS2_PS5_.num_agpr, 0
	.set _ZN9rocsparseL22csr2csc_permute_kernelILj512EliaEEvT0_PKT1_PKT2_PKS1_PS2_PS5_.numbered_sgpr, 12
	.set _ZN9rocsparseL22csr2csc_permute_kernelILj512EliaEEvT0_PKT1_PKT2_PKS1_PS2_PS5_.num_named_barrier, 0
	.set _ZN9rocsparseL22csr2csc_permute_kernelILj512EliaEEvT0_PKT1_PKT2_PKS1_PS2_PS5_.private_seg_size, 0
	.set _ZN9rocsparseL22csr2csc_permute_kernelILj512EliaEEvT0_PKT1_PKT2_PKS1_PS2_PS5_.uses_vcc, 1
	.set _ZN9rocsparseL22csr2csc_permute_kernelILj512EliaEEvT0_PKT1_PKT2_PKS1_PS2_PS5_.uses_flat_scratch, 0
	.set _ZN9rocsparseL22csr2csc_permute_kernelILj512EliaEEvT0_PKT1_PKT2_PKS1_PS2_PS5_.has_dyn_sized_stack, 0
	.set _ZN9rocsparseL22csr2csc_permute_kernelILj512EliaEEvT0_PKT1_PKT2_PKS1_PS2_PS5_.has_recursion, 0
	.set _ZN9rocsparseL22csr2csc_permute_kernelILj512EliaEEvT0_PKT1_PKT2_PKS1_PS2_PS5_.has_indirect_call, 0
	.section	.AMDGPU.csdata,"",@progbits
; Kernel info:
; codeLenInByte = 212
; TotalNumSgprs: 14
; NumVgprs: 8
; ScratchSize: 0
; MemoryBound: 0
; FloatMode: 240
; IeeeMode: 1
; LDSByteSize: 0 bytes/workgroup (compile time only)
; SGPRBlocks: 0
; VGPRBlocks: 0
; NumSGPRsForWavesPerEU: 14
; NumVGPRsForWavesPerEU: 8
; NamedBarCnt: 0
; Occupancy: 16
; WaveLimiterHint : 1
; COMPUTE_PGM_RSRC2:SCRATCH_EN: 0
; COMPUTE_PGM_RSRC2:USER_SGPR: 2
; COMPUTE_PGM_RSRC2:TRAP_HANDLER: 0
; COMPUTE_PGM_RSRC2:TGID_X_EN: 1
; COMPUTE_PGM_RSRC2:TGID_Y_EN: 0
; COMPUTE_PGM_RSRC2:TGID_Z_EN: 0
; COMPUTE_PGM_RSRC2:TIDIG_COMP_CNT: 0
	.section	.text._ZN9rocsparseL22csr2csc_permute_kernelILj512EilaEEvT0_PKT1_PKT2_PKS1_PS2_PS5_,"axG",@progbits,_ZN9rocsparseL22csr2csc_permute_kernelILj512EilaEEvT0_PKT1_PKT2_PKS1_PS2_PS5_,comdat
	.globl	_ZN9rocsparseL22csr2csc_permute_kernelILj512EilaEEvT0_PKT1_PKT2_PKS1_PS2_PS5_ ; -- Begin function _ZN9rocsparseL22csr2csc_permute_kernelILj512EilaEEvT0_PKT1_PKT2_PKS1_PS2_PS5_
	.p2align	8
	.type	_ZN9rocsparseL22csr2csc_permute_kernelILj512EilaEEvT0_PKT1_PKT2_PKS1_PS2_PS5_,@function
_ZN9rocsparseL22csr2csc_permute_kernelILj512EilaEEvT0_PKT1_PKT2_PKS1_PS2_PS5_: ; @_ZN9rocsparseL22csr2csc_permute_kernelILj512EilaEEvT0_PKT1_PKT2_PKS1_PS2_PS5_
; %bb.0:
	s_load_b32 s2, s[0:1], 0x0
	s_bfe_u32 s3, ttmp6, 0x4000c
	s_and_b32 s4, ttmp6, 15
	s_add_co_i32 s3, s3, 1
	s_getreg_b32 s5, hwreg(HW_REG_IB_STS2, 6, 4)
	s_mul_i32 s3, ttmp9, s3
	s_delay_alu instid0(SALU_CYCLE_1) | instskip(SKIP_2) | instid1(SALU_CYCLE_1)
	s_add_co_i32 s4, s4, s3
	s_cmp_eq_u32 s5, 0
	s_cselect_b32 s3, ttmp9, s4
	v_lshl_or_b32 v0, s3, 9, v0
	s_wait_kmcnt 0x0
	s_delay_alu instid0(VALU_DEP_1)
	v_cmp_gt_i32_e32 vcc_lo, s2, v0
	s_and_saveexec_b32 s2, vcc_lo
	s_cbranch_execz .LBB2_2
; %bb.1:
	s_load_b256 s[4:11], s[0:1], 0x8
	s_wait_kmcnt 0x0
	global_load_b32 v1, v0, s[8:9] scale_offset
	s_load_b64 s[0:1], s[0:1], 0x28
	s_wait_loadcnt 0x0
	s_clause 0x1
	global_load_b64 v[2:3], v1, s[4:5] scale_offset
	global_load_u8 v4, v1, s[6:7]
	s_wait_loadcnt 0x1
	global_store_b64 v0, v[2:3], s[10:11] scale_offset
	s_wait_loadcnt 0x0
	s_wait_kmcnt 0x0
	global_store_b8 v0, v4, s[0:1]
.LBB2_2:
	s_endpgm
	.section	.rodata,"a",@progbits
	.p2align	6, 0x0
	.amdhsa_kernel _ZN9rocsparseL22csr2csc_permute_kernelILj512EilaEEvT0_PKT1_PKT2_PKS1_PS2_PS5_
		.amdhsa_group_segment_fixed_size 0
		.amdhsa_private_segment_fixed_size 0
		.amdhsa_kernarg_size 48
		.amdhsa_user_sgpr_count 2
		.amdhsa_user_sgpr_dispatch_ptr 0
		.amdhsa_user_sgpr_queue_ptr 0
		.amdhsa_user_sgpr_kernarg_segment_ptr 1
		.amdhsa_user_sgpr_dispatch_id 0
		.amdhsa_user_sgpr_kernarg_preload_length 0
		.amdhsa_user_sgpr_kernarg_preload_offset 0
		.amdhsa_user_sgpr_private_segment_size 0
		.amdhsa_wavefront_size32 1
		.amdhsa_uses_dynamic_stack 0
		.amdhsa_enable_private_segment 0
		.amdhsa_system_sgpr_workgroup_id_x 1
		.amdhsa_system_sgpr_workgroup_id_y 0
		.amdhsa_system_sgpr_workgroup_id_z 0
		.amdhsa_system_sgpr_workgroup_info 0
		.amdhsa_system_vgpr_workitem_id 0
		.amdhsa_next_free_vgpr 5
		.amdhsa_next_free_sgpr 12
		.amdhsa_named_barrier_count 0
		.amdhsa_reserve_vcc 1
		.amdhsa_float_round_mode_32 0
		.amdhsa_float_round_mode_16_64 0
		.amdhsa_float_denorm_mode_32 3
		.amdhsa_float_denorm_mode_16_64 3
		.amdhsa_fp16_overflow 0
		.amdhsa_memory_ordered 1
		.amdhsa_forward_progress 1
		.amdhsa_inst_pref_size 2
		.amdhsa_round_robin_scheduling 0
		.amdhsa_exception_fp_ieee_invalid_op 0
		.amdhsa_exception_fp_denorm_src 0
		.amdhsa_exception_fp_ieee_div_zero 0
		.amdhsa_exception_fp_ieee_overflow 0
		.amdhsa_exception_fp_ieee_underflow 0
		.amdhsa_exception_fp_ieee_inexact 0
		.amdhsa_exception_int_div_zero 0
	.end_amdhsa_kernel
	.section	.text._ZN9rocsparseL22csr2csc_permute_kernelILj512EilaEEvT0_PKT1_PKT2_PKS1_PS2_PS5_,"axG",@progbits,_ZN9rocsparseL22csr2csc_permute_kernelILj512EilaEEvT0_PKT1_PKT2_PKS1_PS2_PS5_,comdat
.Lfunc_end2:
	.size	_ZN9rocsparseL22csr2csc_permute_kernelILj512EilaEEvT0_PKT1_PKT2_PKS1_PS2_PS5_, .Lfunc_end2-_ZN9rocsparseL22csr2csc_permute_kernelILj512EilaEEvT0_PKT1_PKT2_PKS1_PS2_PS5_
                                        ; -- End function
	.set _ZN9rocsparseL22csr2csc_permute_kernelILj512EilaEEvT0_PKT1_PKT2_PKS1_PS2_PS5_.num_vgpr, 5
	.set _ZN9rocsparseL22csr2csc_permute_kernelILj512EilaEEvT0_PKT1_PKT2_PKS1_PS2_PS5_.num_agpr, 0
	.set _ZN9rocsparseL22csr2csc_permute_kernelILj512EilaEEvT0_PKT1_PKT2_PKS1_PS2_PS5_.numbered_sgpr, 12
	.set _ZN9rocsparseL22csr2csc_permute_kernelILj512EilaEEvT0_PKT1_PKT2_PKS1_PS2_PS5_.num_named_barrier, 0
	.set _ZN9rocsparseL22csr2csc_permute_kernelILj512EilaEEvT0_PKT1_PKT2_PKS1_PS2_PS5_.private_seg_size, 0
	.set _ZN9rocsparseL22csr2csc_permute_kernelILj512EilaEEvT0_PKT1_PKT2_PKS1_PS2_PS5_.uses_vcc, 1
	.set _ZN9rocsparseL22csr2csc_permute_kernelILj512EilaEEvT0_PKT1_PKT2_PKS1_PS2_PS5_.uses_flat_scratch, 0
	.set _ZN9rocsparseL22csr2csc_permute_kernelILj512EilaEEvT0_PKT1_PKT2_PKS1_PS2_PS5_.has_dyn_sized_stack, 0
	.set _ZN9rocsparseL22csr2csc_permute_kernelILj512EilaEEvT0_PKT1_PKT2_PKS1_PS2_PS5_.has_recursion, 0
	.set _ZN9rocsparseL22csr2csc_permute_kernelILj512EilaEEvT0_PKT1_PKT2_PKS1_PS2_PS5_.has_indirect_call, 0
	.section	.AMDGPU.csdata,"",@progbits
; Kernel info:
; codeLenInByte = 180
; TotalNumSgprs: 14
; NumVgprs: 5
; ScratchSize: 0
; MemoryBound: 0
; FloatMode: 240
; IeeeMode: 1
; LDSByteSize: 0 bytes/workgroup (compile time only)
; SGPRBlocks: 0
; VGPRBlocks: 0
; NumSGPRsForWavesPerEU: 14
; NumVGPRsForWavesPerEU: 5
; NamedBarCnt: 0
; Occupancy: 16
; WaveLimiterHint : 1
; COMPUTE_PGM_RSRC2:SCRATCH_EN: 0
; COMPUTE_PGM_RSRC2:USER_SGPR: 2
; COMPUTE_PGM_RSRC2:TRAP_HANDLER: 0
; COMPUTE_PGM_RSRC2:TGID_X_EN: 1
; COMPUTE_PGM_RSRC2:TGID_Y_EN: 0
; COMPUTE_PGM_RSRC2:TGID_Z_EN: 0
; COMPUTE_PGM_RSRC2:TIDIG_COMP_CNT: 0
	.section	.text._ZN9rocsparseL22csr2csc_permute_kernelILj512EllaEEvT0_PKT1_PKT2_PKS1_PS2_PS5_,"axG",@progbits,_ZN9rocsparseL22csr2csc_permute_kernelILj512EllaEEvT0_PKT1_PKT2_PKS1_PS2_PS5_,comdat
	.globl	_ZN9rocsparseL22csr2csc_permute_kernelILj512EllaEEvT0_PKT1_PKT2_PKS1_PS2_PS5_ ; -- Begin function _ZN9rocsparseL22csr2csc_permute_kernelILj512EllaEEvT0_PKT1_PKT2_PKS1_PS2_PS5_
	.p2align	8
	.type	_ZN9rocsparseL22csr2csc_permute_kernelILj512EllaEEvT0_PKT1_PKT2_PKS1_PS2_PS5_,@function
_ZN9rocsparseL22csr2csc_permute_kernelILj512EllaEEvT0_PKT1_PKT2_PKS1_PS2_PS5_: ; @_ZN9rocsparseL22csr2csc_permute_kernelILj512EllaEEvT0_PKT1_PKT2_PKS1_PS2_PS5_
; %bb.0:
	s_bfe_u32 s4, ttmp6, 0x4000c
	s_load_b64 s[2:3], s[0:1], 0x0
	s_add_co_i32 s4, s4, 1
	s_and_b32 s5, ttmp6, 15
	s_mul_i32 s4, ttmp9, s4
	s_getreg_b32 s6, hwreg(HW_REG_IB_STS2, 6, 4)
	s_add_co_i32 s5, s5, s4
	s_cmp_eq_u32 s6, 0
	s_cselect_b32 s4, ttmp9, s5
	s_delay_alu instid0(SALU_CYCLE_1) | instskip(NEXT) | instid1(VALU_DEP_1)
	v_lshl_or_b32 v0, s4, 9, v0
	v_ashrrev_i32_e32 v1, 31, v0
	s_wait_kmcnt 0x0
	s_delay_alu instid0(VALU_DEP_1)
	v_cmp_gt_i64_e32 vcc_lo, s[2:3], v[0:1]
	s_and_saveexec_b32 s2, vcc_lo
	s_cbranch_execz .LBB3_2
; %bb.1:
	s_load_b256 s[4:11], s[0:1], 0x8
	v_lshlrev_b64_e32 v[2:3], 3, v[0:1]
	s_wait_xcnt 0x0
	s_load_b64 s[0:1], s[0:1], 0x28
	s_wait_kmcnt 0x0
	s_delay_alu instid0(VALU_DEP_1)
	v_add_nc_u64_e32 v[4:5], s[8:9], v[2:3]
	v_add_nc_u64_e32 v[2:3], s[10:11], v[2:3]
	;; [unrolled: 1-line block ×3, first 2 shown]
	global_load_b64 v[4:5], v[4:5], off
	s_wait_loadcnt 0x0
	v_add_nc_u64_e32 v[6:7], s[6:7], v[4:5]
	v_lshl_add_u64 v[4:5], v[4:5], 3, s[4:5]
	global_load_b64 v[8:9], v[4:5], off
	global_load_u8 v10, v[6:7], off
	s_wait_loadcnt 0x1
	global_store_b64 v[2:3], v[8:9], off
	s_wait_loadcnt 0x0
	global_store_b8 v[0:1], v10, off
.LBB3_2:
	s_endpgm
	.section	.rodata,"a",@progbits
	.p2align	6, 0x0
	.amdhsa_kernel _ZN9rocsparseL22csr2csc_permute_kernelILj512EllaEEvT0_PKT1_PKT2_PKS1_PS2_PS5_
		.amdhsa_group_segment_fixed_size 0
		.amdhsa_private_segment_fixed_size 0
		.amdhsa_kernarg_size 48
		.amdhsa_user_sgpr_count 2
		.amdhsa_user_sgpr_dispatch_ptr 0
		.amdhsa_user_sgpr_queue_ptr 0
		.amdhsa_user_sgpr_kernarg_segment_ptr 1
		.amdhsa_user_sgpr_dispatch_id 0
		.amdhsa_user_sgpr_kernarg_preload_length 0
		.amdhsa_user_sgpr_kernarg_preload_offset 0
		.amdhsa_user_sgpr_private_segment_size 0
		.amdhsa_wavefront_size32 1
		.amdhsa_uses_dynamic_stack 0
		.amdhsa_enable_private_segment 0
		.amdhsa_system_sgpr_workgroup_id_x 1
		.amdhsa_system_sgpr_workgroup_id_y 0
		.amdhsa_system_sgpr_workgroup_id_z 0
		.amdhsa_system_sgpr_workgroup_info 0
		.amdhsa_system_vgpr_workitem_id 0
		.amdhsa_next_free_vgpr 11
		.amdhsa_next_free_sgpr 12
		.amdhsa_named_barrier_count 0
		.amdhsa_reserve_vcc 1
		.amdhsa_float_round_mode_32 0
		.amdhsa_float_round_mode_16_64 0
		.amdhsa_float_denorm_mode_32 3
		.amdhsa_float_denorm_mode_16_64 3
		.amdhsa_fp16_overflow 0
		.amdhsa_memory_ordered 1
		.amdhsa_forward_progress 1
		.amdhsa_inst_pref_size 2
		.amdhsa_round_robin_scheduling 0
		.amdhsa_exception_fp_ieee_invalid_op 0
		.amdhsa_exception_fp_denorm_src 0
		.amdhsa_exception_fp_ieee_div_zero 0
		.amdhsa_exception_fp_ieee_overflow 0
		.amdhsa_exception_fp_ieee_underflow 0
		.amdhsa_exception_fp_ieee_inexact 0
		.amdhsa_exception_int_div_zero 0
	.end_amdhsa_kernel
	.section	.text._ZN9rocsparseL22csr2csc_permute_kernelILj512EllaEEvT0_PKT1_PKT2_PKS1_PS2_PS5_,"axG",@progbits,_ZN9rocsparseL22csr2csc_permute_kernelILj512EllaEEvT0_PKT1_PKT2_PKS1_PS2_PS5_,comdat
.Lfunc_end3:
	.size	_ZN9rocsparseL22csr2csc_permute_kernelILj512EllaEEvT0_PKT1_PKT2_PKS1_PS2_PS5_, .Lfunc_end3-_ZN9rocsparseL22csr2csc_permute_kernelILj512EllaEEvT0_PKT1_PKT2_PKS1_PS2_PS5_
                                        ; -- End function
	.set _ZN9rocsparseL22csr2csc_permute_kernelILj512EllaEEvT0_PKT1_PKT2_PKS1_PS2_PS5_.num_vgpr, 11
	.set _ZN9rocsparseL22csr2csc_permute_kernelILj512EllaEEvT0_PKT1_PKT2_PKS1_PS2_PS5_.num_agpr, 0
	.set _ZN9rocsparseL22csr2csc_permute_kernelILj512EllaEEvT0_PKT1_PKT2_PKS1_PS2_PS5_.numbered_sgpr, 12
	.set _ZN9rocsparseL22csr2csc_permute_kernelILj512EllaEEvT0_PKT1_PKT2_PKS1_PS2_PS5_.num_named_barrier, 0
	.set _ZN9rocsparseL22csr2csc_permute_kernelILj512EllaEEvT0_PKT1_PKT2_PKS1_PS2_PS5_.private_seg_size, 0
	.set _ZN9rocsparseL22csr2csc_permute_kernelILj512EllaEEvT0_PKT1_PKT2_PKS1_PS2_PS5_.uses_vcc, 1
	.set _ZN9rocsparseL22csr2csc_permute_kernelILj512EllaEEvT0_PKT1_PKT2_PKS1_PS2_PS5_.uses_flat_scratch, 0
	.set _ZN9rocsparseL22csr2csc_permute_kernelILj512EllaEEvT0_PKT1_PKT2_PKS1_PS2_PS5_.has_dyn_sized_stack, 0
	.set _ZN9rocsparseL22csr2csc_permute_kernelILj512EllaEEvT0_PKT1_PKT2_PKS1_PS2_PS5_.has_recursion, 0
	.set _ZN9rocsparseL22csr2csc_permute_kernelILj512EllaEEvT0_PKT1_PKT2_PKS1_PS2_PS5_.has_indirect_call, 0
	.section	.AMDGPU.csdata,"",@progbits
; Kernel info:
; codeLenInByte = 212
; TotalNumSgprs: 14
; NumVgprs: 11
; ScratchSize: 0
; MemoryBound: 0
; FloatMode: 240
; IeeeMode: 1
; LDSByteSize: 0 bytes/workgroup (compile time only)
; SGPRBlocks: 0
; VGPRBlocks: 0
; NumSGPRsForWavesPerEU: 14
; NumVGPRsForWavesPerEU: 11
; NamedBarCnt: 0
; Occupancy: 16
; WaveLimiterHint : 1
; COMPUTE_PGM_RSRC2:SCRATCH_EN: 0
; COMPUTE_PGM_RSRC2:USER_SGPR: 2
; COMPUTE_PGM_RSRC2:TRAP_HANDLER: 0
; COMPUTE_PGM_RSRC2:TGID_X_EN: 1
; COMPUTE_PGM_RSRC2:TGID_Y_EN: 0
; COMPUTE_PGM_RSRC2:TGID_Z_EN: 0
; COMPUTE_PGM_RSRC2:TIDIG_COMP_CNT: 0
	.section	.text._ZN9rocsparseL22csr2csc_permute_kernelILj512EiihEEvT0_PKT1_PKT2_PKS1_PS2_PS5_,"axG",@progbits,_ZN9rocsparseL22csr2csc_permute_kernelILj512EiihEEvT0_PKT1_PKT2_PKS1_PS2_PS5_,comdat
	.globl	_ZN9rocsparseL22csr2csc_permute_kernelILj512EiihEEvT0_PKT1_PKT2_PKS1_PS2_PS5_ ; -- Begin function _ZN9rocsparseL22csr2csc_permute_kernelILj512EiihEEvT0_PKT1_PKT2_PKS1_PS2_PS5_
	.p2align	8
	.type	_ZN9rocsparseL22csr2csc_permute_kernelILj512EiihEEvT0_PKT1_PKT2_PKS1_PS2_PS5_,@function
_ZN9rocsparseL22csr2csc_permute_kernelILj512EiihEEvT0_PKT1_PKT2_PKS1_PS2_PS5_: ; @_ZN9rocsparseL22csr2csc_permute_kernelILj512EiihEEvT0_PKT1_PKT2_PKS1_PS2_PS5_
; %bb.0:
	s_load_b32 s2, s[0:1], 0x0
	s_bfe_u32 s3, ttmp6, 0x4000c
	s_and_b32 s4, ttmp6, 15
	s_add_co_i32 s3, s3, 1
	s_getreg_b32 s5, hwreg(HW_REG_IB_STS2, 6, 4)
	s_mul_i32 s3, ttmp9, s3
	s_delay_alu instid0(SALU_CYCLE_1) | instskip(SKIP_2) | instid1(SALU_CYCLE_1)
	s_add_co_i32 s4, s4, s3
	s_cmp_eq_u32 s5, 0
	s_cselect_b32 s3, ttmp9, s4
	v_lshl_or_b32 v0, s3, 9, v0
	s_wait_kmcnt 0x0
	s_delay_alu instid0(VALU_DEP_1)
	v_cmp_gt_i32_e32 vcc_lo, s2, v0
	s_and_saveexec_b32 s2, vcc_lo
	s_cbranch_execz .LBB4_2
; %bb.1:
	s_load_b256 s[4:11], s[0:1], 0x8
	s_wait_kmcnt 0x0
	global_load_b32 v1, v0, s[8:9] scale_offset
	s_load_b64 s[0:1], s[0:1], 0x28
	s_wait_loadcnt 0x0
	s_clause 0x1
	global_load_b32 v2, v1, s[4:5] scale_offset
	global_load_u8 v3, v1, s[6:7]
	s_wait_loadcnt 0x1
	global_store_b32 v0, v2, s[10:11] scale_offset
	s_wait_loadcnt 0x0
	s_wait_kmcnt 0x0
	global_store_b8 v0, v3, s[0:1]
.LBB4_2:
	s_endpgm
	.section	.rodata,"a",@progbits
	.p2align	6, 0x0
	.amdhsa_kernel _ZN9rocsparseL22csr2csc_permute_kernelILj512EiihEEvT0_PKT1_PKT2_PKS1_PS2_PS5_
		.amdhsa_group_segment_fixed_size 0
		.amdhsa_private_segment_fixed_size 0
		.amdhsa_kernarg_size 48
		.amdhsa_user_sgpr_count 2
		.amdhsa_user_sgpr_dispatch_ptr 0
		.amdhsa_user_sgpr_queue_ptr 0
		.amdhsa_user_sgpr_kernarg_segment_ptr 1
		.amdhsa_user_sgpr_dispatch_id 0
		.amdhsa_user_sgpr_kernarg_preload_length 0
		.amdhsa_user_sgpr_kernarg_preload_offset 0
		.amdhsa_user_sgpr_private_segment_size 0
		.amdhsa_wavefront_size32 1
		.amdhsa_uses_dynamic_stack 0
		.amdhsa_enable_private_segment 0
		.amdhsa_system_sgpr_workgroup_id_x 1
		.amdhsa_system_sgpr_workgroup_id_y 0
		.amdhsa_system_sgpr_workgroup_id_z 0
		.amdhsa_system_sgpr_workgroup_info 0
		.amdhsa_system_vgpr_workitem_id 0
		.amdhsa_next_free_vgpr 4
		.amdhsa_next_free_sgpr 12
		.amdhsa_named_barrier_count 0
		.amdhsa_reserve_vcc 1
		.amdhsa_float_round_mode_32 0
		.amdhsa_float_round_mode_16_64 0
		.amdhsa_float_denorm_mode_32 3
		.amdhsa_float_denorm_mode_16_64 3
		.amdhsa_fp16_overflow 0
		.amdhsa_memory_ordered 1
		.amdhsa_forward_progress 1
		.amdhsa_inst_pref_size 2
		.amdhsa_round_robin_scheduling 0
		.amdhsa_exception_fp_ieee_invalid_op 0
		.amdhsa_exception_fp_denorm_src 0
		.amdhsa_exception_fp_ieee_div_zero 0
		.amdhsa_exception_fp_ieee_overflow 0
		.amdhsa_exception_fp_ieee_underflow 0
		.amdhsa_exception_fp_ieee_inexact 0
		.amdhsa_exception_int_div_zero 0
	.end_amdhsa_kernel
	.section	.text._ZN9rocsparseL22csr2csc_permute_kernelILj512EiihEEvT0_PKT1_PKT2_PKS1_PS2_PS5_,"axG",@progbits,_ZN9rocsparseL22csr2csc_permute_kernelILj512EiihEEvT0_PKT1_PKT2_PKS1_PS2_PS5_,comdat
.Lfunc_end4:
	.size	_ZN9rocsparseL22csr2csc_permute_kernelILj512EiihEEvT0_PKT1_PKT2_PKS1_PS2_PS5_, .Lfunc_end4-_ZN9rocsparseL22csr2csc_permute_kernelILj512EiihEEvT0_PKT1_PKT2_PKS1_PS2_PS5_
                                        ; -- End function
	.set _ZN9rocsparseL22csr2csc_permute_kernelILj512EiihEEvT0_PKT1_PKT2_PKS1_PS2_PS5_.num_vgpr, 4
	.set _ZN9rocsparseL22csr2csc_permute_kernelILj512EiihEEvT0_PKT1_PKT2_PKS1_PS2_PS5_.num_agpr, 0
	.set _ZN9rocsparseL22csr2csc_permute_kernelILj512EiihEEvT0_PKT1_PKT2_PKS1_PS2_PS5_.numbered_sgpr, 12
	.set _ZN9rocsparseL22csr2csc_permute_kernelILj512EiihEEvT0_PKT1_PKT2_PKS1_PS2_PS5_.num_named_barrier, 0
	.set _ZN9rocsparseL22csr2csc_permute_kernelILj512EiihEEvT0_PKT1_PKT2_PKS1_PS2_PS5_.private_seg_size, 0
	.set _ZN9rocsparseL22csr2csc_permute_kernelILj512EiihEEvT0_PKT1_PKT2_PKS1_PS2_PS5_.uses_vcc, 1
	.set _ZN9rocsparseL22csr2csc_permute_kernelILj512EiihEEvT0_PKT1_PKT2_PKS1_PS2_PS5_.uses_flat_scratch, 0
	.set _ZN9rocsparseL22csr2csc_permute_kernelILj512EiihEEvT0_PKT1_PKT2_PKS1_PS2_PS5_.has_dyn_sized_stack, 0
	.set _ZN9rocsparseL22csr2csc_permute_kernelILj512EiihEEvT0_PKT1_PKT2_PKS1_PS2_PS5_.has_recursion, 0
	.set _ZN9rocsparseL22csr2csc_permute_kernelILj512EiihEEvT0_PKT1_PKT2_PKS1_PS2_PS5_.has_indirect_call, 0
	.section	.AMDGPU.csdata,"",@progbits
; Kernel info:
; codeLenInByte = 180
; TotalNumSgprs: 14
; NumVgprs: 4
; ScratchSize: 0
; MemoryBound: 0
; FloatMode: 240
; IeeeMode: 1
; LDSByteSize: 0 bytes/workgroup (compile time only)
; SGPRBlocks: 0
; VGPRBlocks: 0
; NumSGPRsForWavesPerEU: 14
; NumVGPRsForWavesPerEU: 4
; NamedBarCnt: 0
; Occupancy: 16
; WaveLimiterHint : 1
; COMPUTE_PGM_RSRC2:SCRATCH_EN: 0
; COMPUTE_PGM_RSRC2:USER_SGPR: 2
; COMPUTE_PGM_RSRC2:TRAP_HANDLER: 0
; COMPUTE_PGM_RSRC2:TGID_X_EN: 1
; COMPUTE_PGM_RSRC2:TGID_Y_EN: 0
; COMPUTE_PGM_RSRC2:TGID_Z_EN: 0
; COMPUTE_PGM_RSRC2:TIDIG_COMP_CNT: 0
	.section	.text._ZN9rocsparseL22csr2csc_permute_kernelILj512ElihEEvT0_PKT1_PKT2_PKS1_PS2_PS5_,"axG",@progbits,_ZN9rocsparseL22csr2csc_permute_kernelILj512ElihEEvT0_PKT1_PKT2_PKS1_PS2_PS5_,comdat
	.globl	_ZN9rocsparseL22csr2csc_permute_kernelILj512ElihEEvT0_PKT1_PKT2_PKS1_PS2_PS5_ ; -- Begin function _ZN9rocsparseL22csr2csc_permute_kernelILj512ElihEEvT0_PKT1_PKT2_PKS1_PS2_PS5_
	.p2align	8
	.type	_ZN9rocsparseL22csr2csc_permute_kernelILj512ElihEEvT0_PKT1_PKT2_PKS1_PS2_PS5_,@function
_ZN9rocsparseL22csr2csc_permute_kernelILj512ElihEEvT0_PKT1_PKT2_PKS1_PS2_PS5_: ; @_ZN9rocsparseL22csr2csc_permute_kernelILj512ElihEEvT0_PKT1_PKT2_PKS1_PS2_PS5_
; %bb.0:
	s_bfe_u32 s4, ttmp6, 0x4000c
	s_load_b64 s[2:3], s[0:1], 0x0
	s_add_co_i32 s4, s4, 1
	s_and_b32 s5, ttmp6, 15
	s_mul_i32 s4, ttmp9, s4
	s_getreg_b32 s6, hwreg(HW_REG_IB_STS2, 6, 4)
	s_add_co_i32 s5, s5, s4
	s_cmp_eq_u32 s6, 0
	s_cselect_b32 s4, ttmp9, s5
	s_delay_alu instid0(SALU_CYCLE_1) | instskip(NEXT) | instid1(VALU_DEP_1)
	v_lshl_or_b32 v0, s4, 9, v0
	v_ashrrev_i32_e32 v1, 31, v0
	s_wait_kmcnt 0x0
	s_delay_alu instid0(VALU_DEP_1)
	v_cmp_gt_i64_e32 vcc_lo, s[2:3], v[0:1]
	s_and_saveexec_b32 s2, vcc_lo
	s_cbranch_execz .LBB5_2
; %bb.1:
	s_load_b256 s[4:11], s[0:1], 0x8
	s_wait_kmcnt 0x0
	v_lshl_add_u64 v[2:3], v[0:1], 3, s[8:9]
	s_load_b64 s[0:1], s[0:1], 0x28
	global_load_b64 v[2:3], v[2:3], off
	s_wait_loadcnt 0x0
	v_add_nc_u64_e32 v[4:5], s[6:7], v[2:3]
	v_lshl_add_u64 v[2:3], v[2:3], 2, s[4:5]
	global_load_b32 v6, v[2:3], off
	global_load_u8 v7, v[4:5], off
	s_wait_kmcnt 0x0
	v_add_nc_u64_e32 v[2:3], s[0:1], v[0:1]
	v_lshl_add_u64 v[0:1], v[0:1], 2, s[10:11]
	s_wait_loadcnt 0x1
	global_store_b32 v[0:1], v6, off
	s_wait_loadcnt 0x0
	global_store_b8 v[2:3], v7, off
.LBB5_2:
	s_endpgm
	.section	.rodata,"a",@progbits
	.p2align	6, 0x0
	.amdhsa_kernel _ZN9rocsparseL22csr2csc_permute_kernelILj512ElihEEvT0_PKT1_PKT2_PKS1_PS2_PS5_
		.amdhsa_group_segment_fixed_size 0
		.amdhsa_private_segment_fixed_size 0
		.amdhsa_kernarg_size 48
		.amdhsa_user_sgpr_count 2
		.amdhsa_user_sgpr_dispatch_ptr 0
		.amdhsa_user_sgpr_queue_ptr 0
		.amdhsa_user_sgpr_kernarg_segment_ptr 1
		.amdhsa_user_sgpr_dispatch_id 0
		.amdhsa_user_sgpr_kernarg_preload_length 0
		.amdhsa_user_sgpr_kernarg_preload_offset 0
		.amdhsa_user_sgpr_private_segment_size 0
		.amdhsa_wavefront_size32 1
		.amdhsa_uses_dynamic_stack 0
		.amdhsa_enable_private_segment 0
		.amdhsa_system_sgpr_workgroup_id_x 1
		.amdhsa_system_sgpr_workgroup_id_y 0
		.amdhsa_system_sgpr_workgroup_id_z 0
		.amdhsa_system_sgpr_workgroup_info 0
		.amdhsa_system_vgpr_workitem_id 0
		.amdhsa_next_free_vgpr 8
		.amdhsa_next_free_sgpr 12
		.amdhsa_named_barrier_count 0
		.amdhsa_reserve_vcc 1
		.amdhsa_float_round_mode_32 0
		.amdhsa_float_round_mode_16_64 0
		.amdhsa_float_denorm_mode_32 3
		.amdhsa_float_denorm_mode_16_64 3
		.amdhsa_fp16_overflow 0
		.amdhsa_memory_ordered 1
		.amdhsa_forward_progress 1
		.amdhsa_inst_pref_size 2
		.amdhsa_round_robin_scheduling 0
		.amdhsa_exception_fp_ieee_invalid_op 0
		.amdhsa_exception_fp_denorm_src 0
		.amdhsa_exception_fp_ieee_div_zero 0
		.amdhsa_exception_fp_ieee_overflow 0
		.amdhsa_exception_fp_ieee_underflow 0
		.amdhsa_exception_fp_ieee_inexact 0
		.amdhsa_exception_int_div_zero 0
	.end_amdhsa_kernel
	.section	.text._ZN9rocsparseL22csr2csc_permute_kernelILj512ElihEEvT0_PKT1_PKT2_PKS1_PS2_PS5_,"axG",@progbits,_ZN9rocsparseL22csr2csc_permute_kernelILj512ElihEEvT0_PKT1_PKT2_PKS1_PS2_PS5_,comdat
.Lfunc_end5:
	.size	_ZN9rocsparseL22csr2csc_permute_kernelILj512ElihEEvT0_PKT1_PKT2_PKS1_PS2_PS5_, .Lfunc_end5-_ZN9rocsparseL22csr2csc_permute_kernelILj512ElihEEvT0_PKT1_PKT2_PKS1_PS2_PS5_
                                        ; -- End function
	.set _ZN9rocsparseL22csr2csc_permute_kernelILj512ElihEEvT0_PKT1_PKT2_PKS1_PS2_PS5_.num_vgpr, 8
	.set _ZN9rocsparseL22csr2csc_permute_kernelILj512ElihEEvT0_PKT1_PKT2_PKS1_PS2_PS5_.num_agpr, 0
	.set _ZN9rocsparseL22csr2csc_permute_kernelILj512ElihEEvT0_PKT1_PKT2_PKS1_PS2_PS5_.numbered_sgpr, 12
	.set _ZN9rocsparseL22csr2csc_permute_kernelILj512ElihEEvT0_PKT1_PKT2_PKS1_PS2_PS5_.num_named_barrier, 0
	.set _ZN9rocsparseL22csr2csc_permute_kernelILj512ElihEEvT0_PKT1_PKT2_PKS1_PS2_PS5_.private_seg_size, 0
	.set _ZN9rocsparseL22csr2csc_permute_kernelILj512ElihEEvT0_PKT1_PKT2_PKS1_PS2_PS5_.uses_vcc, 1
	.set _ZN9rocsparseL22csr2csc_permute_kernelILj512ElihEEvT0_PKT1_PKT2_PKS1_PS2_PS5_.uses_flat_scratch, 0
	.set _ZN9rocsparseL22csr2csc_permute_kernelILj512ElihEEvT0_PKT1_PKT2_PKS1_PS2_PS5_.has_dyn_sized_stack, 0
	.set _ZN9rocsparseL22csr2csc_permute_kernelILj512ElihEEvT0_PKT1_PKT2_PKS1_PS2_PS5_.has_recursion, 0
	.set _ZN9rocsparseL22csr2csc_permute_kernelILj512ElihEEvT0_PKT1_PKT2_PKS1_PS2_PS5_.has_indirect_call, 0
	.section	.AMDGPU.csdata,"",@progbits
; Kernel info:
; codeLenInByte = 212
; TotalNumSgprs: 14
; NumVgprs: 8
; ScratchSize: 0
; MemoryBound: 0
; FloatMode: 240
; IeeeMode: 1
; LDSByteSize: 0 bytes/workgroup (compile time only)
; SGPRBlocks: 0
; VGPRBlocks: 0
; NumSGPRsForWavesPerEU: 14
; NumVGPRsForWavesPerEU: 8
; NamedBarCnt: 0
; Occupancy: 16
; WaveLimiterHint : 1
; COMPUTE_PGM_RSRC2:SCRATCH_EN: 0
; COMPUTE_PGM_RSRC2:USER_SGPR: 2
; COMPUTE_PGM_RSRC2:TRAP_HANDLER: 0
; COMPUTE_PGM_RSRC2:TGID_X_EN: 1
; COMPUTE_PGM_RSRC2:TGID_Y_EN: 0
; COMPUTE_PGM_RSRC2:TGID_Z_EN: 0
; COMPUTE_PGM_RSRC2:TIDIG_COMP_CNT: 0
	.section	.text._ZN9rocsparseL22csr2csc_permute_kernelILj512EilhEEvT0_PKT1_PKT2_PKS1_PS2_PS5_,"axG",@progbits,_ZN9rocsparseL22csr2csc_permute_kernelILj512EilhEEvT0_PKT1_PKT2_PKS1_PS2_PS5_,comdat
	.globl	_ZN9rocsparseL22csr2csc_permute_kernelILj512EilhEEvT0_PKT1_PKT2_PKS1_PS2_PS5_ ; -- Begin function _ZN9rocsparseL22csr2csc_permute_kernelILj512EilhEEvT0_PKT1_PKT2_PKS1_PS2_PS5_
	.p2align	8
	.type	_ZN9rocsparseL22csr2csc_permute_kernelILj512EilhEEvT0_PKT1_PKT2_PKS1_PS2_PS5_,@function
_ZN9rocsparseL22csr2csc_permute_kernelILj512EilhEEvT0_PKT1_PKT2_PKS1_PS2_PS5_: ; @_ZN9rocsparseL22csr2csc_permute_kernelILj512EilhEEvT0_PKT1_PKT2_PKS1_PS2_PS5_
; %bb.0:
	s_load_b32 s2, s[0:1], 0x0
	s_bfe_u32 s3, ttmp6, 0x4000c
	s_and_b32 s4, ttmp6, 15
	s_add_co_i32 s3, s3, 1
	s_getreg_b32 s5, hwreg(HW_REG_IB_STS2, 6, 4)
	s_mul_i32 s3, ttmp9, s3
	s_delay_alu instid0(SALU_CYCLE_1) | instskip(SKIP_2) | instid1(SALU_CYCLE_1)
	s_add_co_i32 s4, s4, s3
	s_cmp_eq_u32 s5, 0
	s_cselect_b32 s3, ttmp9, s4
	v_lshl_or_b32 v0, s3, 9, v0
	s_wait_kmcnt 0x0
	s_delay_alu instid0(VALU_DEP_1)
	v_cmp_gt_i32_e32 vcc_lo, s2, v0
	s_and_saveexec_b32 s2, vcc_lo
	s_cbranch_execz .LBB6_2
; %bb.1:
	s_load_b256 s[4:11], s[0:1], 0x8
	s_wait_kmcnt 0x0
	global_load_b32 v1, v0, s[8:9] scale_offset
	s_load_b64 s[0:1], s[0:1], 0x28
	s_wait_loadcnt 0x0
	s_clause 0x1
	global_load_b64 v[2:3], v1, s[4:5] scale_offset
	global_load_u8 v4, v1, s[6:7]
	s_wait_loadcnt 0x1
	global_store_b64 v0, v[2:3], s[10:11] scale_offset
	s_wait_loadcnt 0x0
	s_wait_kmcnt 0x0
	global_store_b8 v0, v4, s[0:1]
.LBB6_2:
	s_endpgm
	.section	.rodata,"a",@progbits
	.p2align	6, 0x0
	.amdhsa_kernel _ZN9rocsparseL22csr2csc_permute_kernelILj512EilhEEvT0_PKT1_PKT2_PKS1_PS2_PS5_
		.amdhsa_group_segment_fixed_size 0
		.amdhsa_private_segment_fixed_size 0
		.amdhsa_kernarg_size 48
		.amdhsa_user_sgpr_count 2
		.amdhsa_user_sgpr_dispatch_ptr 0
		.amdhsa_user_sgpr_queue_ptr 0
		.amdhsa_user_sgpr_kernarg_segment_ptr 1
		.amdhsa_user_sgpr_dispatch_id 0
		.amdhsa_user_sgpr_kernarg_preload_length 0
		.amdhsa_user_sgpr_kernarg_preload_offset 0
		.amdhsa_user_sgpr_private_segment_size 0
		.amdhsa_wavefront_size32 1
		.amdhsa_uses_dynamic_stack 0
		.amdhsa_enable_private_segment 0
		.amdhsa_system_sgpr_workgroup_id_x 1
		.amdhsa_system_sgpr_workgroup_id_y 0
		.amdhsa_system_sgpr_workgroup_id_z 0
		.amdhsa_system_sgpr_workgroup_info 0
		.amdhsa_system_vgpr_workitem_id 0
		.amdhsa_next_free_vgpr 5
		.amdhsa_next_free_sgpr 12
		.amdhsa_named_barrier_count 0
		.amdhsa_reserve_vcc 1
		.amdhsa_float_round_mode_32 0
		.amdhsa_float_round_mode_16_64 0
		.amdhsa_float_denorm_mode_32 3
		.amdhsa_float_denorm_mode_16_64 3
		.amdhsa_fp16_overflow 0
		.amdhsa_memory_ordered 1
		.amdhsa_forward_progress 1
		.amdhsa_inst_pref_size 2
		.amdhsa_round_robin_scheduling 0
		.amdhsa_exception_fp_ieee_invalid_op 0
		.amdhsa_exception_fp_denorm_src 0
		.amdhsa_exception_fp_ieee_div_zero 0
		.amdhsa_exception_fp_ieee_overflow 0
		.amdhsa_exception_fp_ieee_underflow 0
		.amdhsa_exception_fp_ieee_inexact 0
		.amdhsa_exception_int_div_zero 0
	.end_amdhsa_kernel
	.section	.text._ZN9rocsparseL22csr2csc_permute_kernelILj512EilhEEvT0_PKT1_PKT2_PKS1_PS2_PS5_,"axG",@progbits,_ZN9rocsparseL22csr2csc_permute_kernelILj512EilhEEvT0_PKT1_PKT2_PKS1_PS2_PS5_,comdat
.Lfunc_end6:
	.size	_ZN9rocsparseL22csr2csc_permute_kernelILj512EilhEEvT0_PKT1_PKT2_PKS1_PS2_PS5_, .Lfunc_end6-_ZN9rocsparseL22csr2csc_permute_kernelILj512EilhEEvT0_PKT1_PKT2_PKS1_PS2_PS5_
                                        ; -- End function
	.set _ZN9rocsparseL22csr2csc_permute_kernelILj512EilhEEvT0_PKT1_PKT2_PKS1_PS2_PS5_.num_vgpr, 5
	.set _ZN9rocsparseL22csr2csc_permute_kernelILj512EilhEEvT0_PKT1_PKT2_PKS1_PS2_PS5_.num_agpr, 0
	.set _ZN9rocsparseL22csr2csc_permute_kernelILj512EilhEEvT0_PKT1_PKT2_PKS1_PS2_PS5_.numbered_sgpr, 12
	.set _ZN9rocsparseL22csr2csc_permute_kernelILj512EilhEEvT0_PKT1_PKT2_PKS1_PS2_PS5_.num_named_barrier, 0
	.set _ZN9rocsparseL22csr2csc_permute_kernelILj512EilhEEvT0_PKT1_PKT2_PKS1_PS2_PS5_.private_seg_size, 0
	.set _ZN9rocsparseL22csr2csc_permute_kernelILj512EilhEEvT0_PKT1_PKT2_PKS1_PS2_PS5_.uses_vcc, 1
	.set _ZN9rocsparseL22csr2csc_permute_kernelILj512EilhEEvT0_PKT1_PKT2_PKS1_PS2_PS5_.uses_flat_scratch, 0
	.set _ZN9rocsparseL22csr2csc_permute_kernelILj512EilhEEvT0_PKT1_PKT2_PKS1_PS2_PS5_.has_dyn_sized_stack, 0
	.set _ZN9rocsparseL22csr2csc_permute_kernelILj512EilhEEvT0_PKT1_PKT2_PKS1_PS2_PS5_.has_recursion, 0
	.set _ZN9rocsparseL22csr2csc_permute_kernelILj512EilhEEvT0_PKT1_PKT2_PKS1_PS2_PS5_.has_indirect_call, 0
	.section	.AMDGPU.csdata,"",@progbits
; Kernel info:
; codeLenInByte = 180
; TotalNumSgprs: 14
; NumVgprs: 5
; ScratchSize: 0
; MemoryBound: 0
; FloatMode: 240
; IeeeMode: 1
; LDSByteSize: 0 bytes/workgroup (compile time only)
; SGPRBlocks: 0
; VGPRBlocks: 0
; NumSGPRsForWavesPerEU: 14
; NumVGPRsForWavesPerEU: 5
; NamedBarCnt: 0
; Occupancy: 16
; WaveLimiterHint : 1
; COMPUTE_PGM_RSRC2:SCRATCH_EN: 0
; COMPUTE_PGM_RSRC2:USER_SGPR: 2
; COMPUTE_PGM_RSRC2:TRAP_HANDLER: 0
; COMPUTE_PGM_RSRC2:TGID_X_EN: 1
; COMPUTE_PGM_RSRC2:TGID_Y_EN: 0
; COMPUTE_PGM_RSRC2:TGID_Z_EN: 0
; COMPUTE_PGM_RSRC2:TIDIG_COMP_CNT: 0
	.section	.text._ZN9rocsparseL22csr2csc_permute_kernelILj512EllhEEvT0_PKT1_PKT2_PKS1_PS2_PS5_,"axG",@progbits,_ZN9rocsparseL22csr2csc_permute_kernelILj512EllhEEvT0_PKT1_PKT2_PKS1_PS2_PS5_,comdat
	.globl	_ZN9rocsparseL22csr2csc_permute_kernelILj512EllhEEvT0_PKT1_PKT2_PKS1_PS2_PS5_ ; -- Begin function _ZN9rocsparseL22csr2csc_permute_kernelILj512EllhEEvT0_PKT1_PKT2_PKS1_PS2_PS5_
	.p2align	8
	.type	_ZN9rocsparseL22csr2csc_permute_kernelILj512EllhEEvT0_PKT1_PKT2_PKS1_PS2_PS5_,@function
_ZN9rocsparseL22csr2csc_permute_kernelILj512EllhEEvT0_PKT1_PKT2_PKS1_PS2_PS5_: ; @_ZN9rocsparseL22csr2csc_permute_kernelILj512EllhEEvT0_PKT1_PKT2_PKS1_PS2_PS5_
; %bb.0:
	s_bfe_u32 s4, ttmp6, 0x4000c
	s_load_b64 s[2:3], s[0:1], 0x0
	s_add_co_i32 s4, s4, 1
	s_and_b32 s5, ttmp6, 15
	s_mul_i32 s4, ttmp9, s4
	s_getreg_b32 s6, hwreg(HW_REG_IB_STS2, 6, 4)
	s_add_co_i32 s5, s5, s4
	s_cmp_eq_u32 s6, 0
	s_cselect_b32 s4, ttmp9, s5
	s_delay_alu instid0(SALU_CYCLE_1) | instskip(NEXT) | instid1(VALU_DEP_1)
	v_lshl_or_b32 v0, s4, 9, v0
	v_ashrrev_i32_e32 v1, 31, v0
	s_wait_kmcnt 0x0
	s_delay_alu instid0(VALU_DEP_1)
	v_cmp_gt_i64_e32 vcc_lo, s[2:3], v[0:1]
	s_and_saveexec_b32 s2, vcc_lo
	s_cbranch_execz .LBB7_2
; %bb.1:
	s_load_b256 s[4:11], s[0:1], 0x8
	v_lshlrev_b64_e32 v[2:3], 3, v[0:1]
	s_wait_xcnt 0x0
	s_load_b64 s[0:1], s[0:1], 0x28
	s_wait_kmcnt 0x0
	s_delay_alu instid0(VALU_DEP_1)
	v_add_nc_u64_e32 v[4:5], s[8:9], v[2:3]
	v_add_nc_u64_e32 v[2:3], s[10:11], v[2:3]
	;; [unrolled: 1-line block ×3, first 2 shown]
	global_load_b64 v[4:5], v[4:5], off
	s_wait_loadcnt 0x0
	v_add_nc_u64_e32 v[6:7], s[6:7], v[4:5]
	v_lshl_add_u64 v[4:5], v[4:5], 3, s[4:5]
	global_load_b64 v[8:9], v[4:5], off
	global_load_u8 v10, v[6:7], off
	s_wait_loadcnt 0x1
	global_store_b64 v[2:3], v[8:9], off
	s_wait_loadcnt 0x0
	global_store_b8 v[0:1], v10, off
.LBB7_2:
	s_endpgm
	.section	.rodata,"a",@progbits
	.p2align	6, 0x0
	.amdhsa_kernel _ZN9rocsparseL22csr2csc_permute_kernelILj512EllhEEvT0_PKT1_PKT2_PKS1_PS2_PS5_
		.amdhsa_group_segment_fixed_size 0
		.amdhsa_private_segment_fixed_size 0
		.amdhsa_kernarg_size 48
		.amdhsa_user_sgpr_count 2
		.amdhsa_user_sgpr_dispatch_ptr 0
		.amdhsa_user_sgpr_queue_ptr 0
		.amdhsa_user_sgpr_kernarg_segment_ptr 1
		.amdhsa_user_sgpr_dispatch_id 0
		.amdhsa_user_sgpr_kernarg_preload_length 0
		.amdhsa_user_sgpr_kernarg_preload_offset 0
		.amdhsa_user_sgpr_private_segment_size 0
		.amdhsa_wavefront_size32 1
		.amdhsa_uses_dynamic_stack 0
		.amdhsa_enable_private_segment 0
		.amdhsa_system_sgpr_workgroup_id_x 1
		.amdhsa_system_sgpr_workgroup_id_y 0
		.amdhsa_system_sgpr_workgroup_id_z 0
		.amdhsa_system_sgpr_workgroup_info 0
		.amdhsa_system_vgpr_workitem_id 0
		.amdhsa_next_free_vgpr 11
		.amdhsa_next_free_sgpr 12
		.amdhsa_named_barrier_count 0
		.amdhsa_reserve_vcc 1
		.amdhsa_float_round_mode_32 0
		.amdhsa_float_round_mode_16_64 0
		.amdhsa_float_denorm_mode_32 3
		.amdhsa_float_denorm_mode_16_64 3
		.amdhsa_fp16_overflow 0
		.amdhsa_memory_ordered 1
		.amdhsa_forward_progress 1
		.amdhsa_inst_pref_size 2
		.amdhsa_round_robin_scheduling 0
		.amdhsa_exception_fp_ieee_invalid_op 0
		.amdhsa_exception_fp_denorm_src 0
		.amdhsa_exception_fp_ieee_div_zero 0
		.amdhsa_exception_fp_ieee_overflow 0
		.amdhsa_exception_fp_ieee_underflow 0
		.amdhsa_exception_fp_ieee_inexact 0
		.amdhsa_exception_int_div_zero 0
	.end_amdhsa_kernel
	.section	.text._ZN9rocsparseL22csr2csc_permute_kernelILj512EllhEEvT0_PKT1_PKT2_PKS1_PS2_PS5_,"axG",@progbits,_ZN9rocsparseL22csr2csc_permute_kernelILj512EllhEEvT0_PKT1_PKT2_PKS1_PS2_PS5_,comdat
.Lfunc_end7:
	.size	_ZN9rocsparseL22csr2csc_permute_kernelILj512EllhEEvT0_PKT1_PKT2_PKS1_PS2_PS5_, .Lfunc_end7-_ZN9rocsparseL22csr2csc_permute_kernelILj512EllhEEvT0_PKT1_PKT2_PKS1_PS2_PS5_
                                        ; -- End function
	.set _ZN9rocsparseL22csr2csc_permute_kernelILj512EllhEEvT0_PKT1_PKT2_PKS1_PS2_PS5_.num_vgpr, 11
	.set _ZN9rocsparseL22csr2csc_permute_kernelILj512EllhEEvT0_PKT1_PKT2_PKS1_PS2_PS5_.num_agpr, 0
	.set _ZN9rocsparseL22csr2csc_permute_kernelILj512EllhEEvT0_PKT1_PKT2_PKS1_PS2_PS5_.numbered_sgpr, 12
	.set _ZN9rocsparseL22csr2csc_permute_kernelILj512EllhEEvT0_PKT1_PKT2_PKS1_PS2_PS5_.num_named_barrier, 0
	.set _ZN9rocsparseL22csr2csc_permute_kernelILj512EllhEEvT0_PKT1_PKT2_PKS1_PS2_PS5_.private_seg_size, 0
	.set _ZN9rocsparseL22csr2csc_permute_kernelILj512EllhEEvT0_PKT1_PKT2_PKS1_PS2_PS5_.uses_vcc, 1
	.set _ZN9rocsparseL22csr2csc_permute_kernelILj512EllhEEvT0_PKT1_PKT2_PKS1_PS2_PS5_.uses_flat_scratch, 0
	.set _ZN9rocsparseL22csr2csc_permute_kernelILj512EllhEEvT0_PKT1_PKT2_PKS1_PS2_PS5_.has_dyn_sized_stack, 0
	.set _ZN9rocsparseL22csr2csc_permute_kernelILj512EllhEEvT0_PKT1_PKT2_PKS1_PS2_PS5_.has_recursion, 0
	.set _ZN9rocsparseL22csr2csc_permute_kernelILj512EllhEEvT0_PKT1_PKT2_PKS1_PS2_PS5_.has_indirect_call, 0
	.section	.AMDGPU.csdata,"",@progbits
; Kernel info:
; codeLenInByte = 212
; TotalNumSgprs: 14
; NumVgprs: 11
; ScratchSize: 0
; MemoryBound: 0
; FloatMode: 240
; IeeeMode: 1
; LDSByteSize: 0 bytes/workgroup (compile time only)
; SGPRBlocks: 0
; VGPRBlocks: 0
; NumSGPRsForWavesPerEU: 14
; NumVGPRsForWavesPerEU: 11
; NamedBarCnt: 0
; Occupancy: 16
; WaveLimiterHint : 1
; COMPUTE_PGM_RSRC2:SCRATCH_EN: 0
; COMPUTE_PGM_RSRC2:USER_SGPR: 2
; COMPUTE_PGM_RSRC2:TRAP_HANDLER: 0
; COMPUTE_PGM_RSRC2:TGID_X_EN: 1
; COMPUTE_PGM_RSRC2:TGID_Y_EN: 0
; COMPUTE_PGM_RSRC2:TGID_Z_EN: 0
; COMPUTE_PGM_RSRC2:TIDIG_COMP_CNT: 0
	.section	.text._ZN9rocsparseL22csr2csc_permute_kernelILj512EiijEEvT0_PKT1_PKT2_PKS1_PS2_PS5_,"axG",@progbits,_ZN9rocsparseL22csr2csc_permute_kernelILj512EiijEEvT0_PKT1_PKT2_PKS1_PS2_PS5_,comdat
	.globl	_ZN9rocsparseL22csr2csc_permute_kernelILj512EiijEEvT0_PKT1_PKT2_PKS1_PS2_PS5_ ; -- Begin function _ZN9rocsparseL22csr2csc_permute_kernelILj512EiijEEvT0_PKT1_PKT2_PKS1_PS2_PS5_
	.p2align	8
	.type	_ZN9rocsparseL22csr2csc_permute_kernelILj512EiijEEvT0_PKT1_PKT2_PKS1_PS2_PS5_,@function
_ZN9rocsparseL22csr2csc_permute_kernelILj512EiijEEvT0_PKT1_PKT2_PKS1_PS2_PS5_: ; @_ZN9rocsparseL22csr2csc_permute_kernelILj512EiijEEvT0_PKT1_PKT2_PKS1_PS2_PS5_
; %bb.0:
	s_load_b32 s2, s[0:1], 0x0
	s_bfe_u32 s3, ttmp6, 0x4000c
	s_and_b32 s4, ttmp6, 15
	s_add_co_i32 s3, s3, 1
	s_getreg_b32 s5, hwreg(HW_REG_IB_STS2, 6, 4)
	s_mul_i32 s3, ttmp9, s3
	s_delay_alu instid0(SALU_CYCLE_1) | instskip(SKIP_2) | instid1(SALU_CYCLE_1)
	s_add_co_i32 s4, s4, s3
	s_cmp_eq_u32 s5, 0
	s_cselect_b32 s3, ttmp9, s4
	v_lshl_or_b32 v0, s3, 9, v0
	s_wait_kmcnt 0x0
	s_delay_alu instid0(VALU_DEP_1)
	v_cmp_gt_i32_e32 vcc_lo, s2, v0
	s_and_saveexec_b32 s2, vcc_lo
	s_cbranch_execz .LBB8_2
; %bb.1:
	s_load_b256 s[4:11], s[0:1], 0x8
	s_wait_kmcnt 0x0
	global_load_b32 v1, v0, s[8:9] scale_offset
	s_load_b64 s[0:1], s[0:1], 0x28
	s_wait_loadcnt 0x0
	s_clause 0x1
	global_load_b32 v2, v1, s[4:5] scale_offset
	global_load_b32 v3, v1, s[6:7] scale_offset
	s_wait_loadcnt 0x1
	global_store_b32 v0, v2, s[10:11] scale_offset
	s_wait_loadcnt 0x0
	s_wait_kmcnt 0x0
	global_store_b32 v0, v3, s[0:1] scale_offset
.LBB8_2:
	s_endpgm
	.section	.rodata,"a",@progbits
	.p2align	6, 0x0
	.amdhsa_kernel _ZN9rocsparseL22csr2csc_permute_kernelILj512EiijEEvT0_PKT1_PKT2_PKS1_PS2_PS5_
		.amdhsa_group_segment_fixed_size 0
		.amdhsa_private_segment_fixed_size 0
		.amdhsa_kernarg_size 48
		.amdhsa_user_sgpr_count 2
		.amdhsa_user_sgpr_dispatch_ptr 0
		.amdhsa_user_sgpr_queue_ptr 0
		.amdhsa_user_sgpr_kernarg_segment_ptr 1
		.amdhsa_user_sgpr_dispatch_id 0
		.amdhsa_user_sgpr_kernarg_preload_length 0
		.amdhsa_user_sgpr_kernarg_preload_offset 0
		.amdhsa_user_sgpr_private_segment_size 0
		.amdhsa_wavefront_size32 1
		.amdhsa_uses_dynamic_stack 0
		.amdhsa_enable_private_segment 0
		.amdhsa_system_sgpr_workgroup_id_x 1
		.amdhsa_system_sgpr_workgroup_id_y 0
		.amdhsa_system_sgpr_workgroup_id_z 0
		.amdhsa_system_sgpr_workgroup_info 0
		.amdhsa_system_vgpr_workitem_id 0
		.amdhsa_next_free_vgpr 4
		.amdhsa_next_free_sgpr 12
		.amdhsa_named_barrier_count 0
		.amdhsa_reserve_vcc 1
		.amdhsa_float_round_mode_32 0
		.amdhsa_float_round_mode_16_64 0
		.amdhsa_float_denorm_mode_32 3
		.amdhsa_float_denorm_mode_16_64 3
		.amdhsa_fp16_overflow 0
		.amdhsa_memory_ordered 1
		.amdhsa_forward_progress 1
		.amdhsa_inst_pref_size 2
		.amdhsa_round_robin_scheduling 0
		.amdhsa_exception_fp_ieee_invalid_op 0
		.amdhsa_exception_fp_denorm_src 0
		.amdhsa_exception_fp_ieee_div_zero 0
		.amdhsa_exception_fp_ieee_overflow 0
		.amdhsa_exception_fp_ieee_underflow 0
		.amdhsa_exception_fp_ieee_inexact 0
		.amdhsa_exception_int_div_zero 0
	.end_amdhsa_kernel
	.section	.text._ZN9rocsparseL22csr2csc_permute_kernelILj512EiijEEvT0_PKT1_PKT2_PKS1_PS2_PS5_,"axG",@progbits,_ZN9rocsparseL22csr2csc_permute_kernelILj512EiijEEvT0_PKT1_PKT2_PKS1_PS2_PS5_,comdat
.Lfunc_end8:
	.size	_ZN9rocsparseL22csr2csc_permute_kernelILj512EiijEEvT0_PKT1_PKT2_PKS1_PS2_PS5_, .Lfunc_end8-_ZN9rocsparseL22csr2csc_permute_kernelILj512EiijEEvT0_PKT1_PKT2_PKS1_PS2_PS5_
                                        ; -- End function
	.set _ZN9rocsparseL22csr2csc_permute_kernelILj512EiijEEvT0_PKT1_PKT2_PKS1_PS2_PS5_.num_vgpr, 4
	.set _ZN9rocsparseL22csr2csc_permute_kernelILj512EiijEEvT0_PKT1_PKT2_PKS1_PS2_PS5_.num_agpr, 0
	.set _ZN9rocsparseL22csr2csc_permute_kernelILj512EiijEEvT0_PKT1_PKT2_PKS1_PS2_PS5_.numbered_sgpr, 12
	.set _ZN9rocsparseL22csr2csc_permute_kernelILj512EiijEEvT0_PKT1_PKT2_PKS1_PS2_PS5_.num_named_barrier, 0
	.set _ZN9rocsparseL22csr2csc_permute_kernelILj512EiijEEvT0_PKT1_PKT2_PKS1_PS2_PS5_.private_seg_size, 0
	.set _ZN9rocsparseL22csr2csc_permute_kernelILj512EiijEEvT0_PKT1_PKT2_PKS1_PS2_PS5_.uses_vcc, 1
	.set _ZN9rocsparseL22csr2csc_permute_kernelILj512EiijEEvT0_PKT1_PKT2_PKS1_PS2_PS5_.uses_flat_scratch, 0
	.set _ZN9rocsparseL22csr2csc_permute_kernelILj512EiijEEvT0_PKT1_PKT2_PKS1_PS2_PS5_.has_dyn_sized_stack, 0
	.set _ZN9rocsparseL22csr2csc_permute_kernelILj512EiijEEvT0_PKT1_PKT2_PKS1_PS2_PS5_.has_recursion, 0
	.set _ZN9rocsparseL22csr2csc_permute_kernelILj512EiijEEvT0_PKT1_PKT2_PKS1_PS2_PS5_.has_indirect_call, 0
	.section	.AMDGPU.csdata,"",@progbits
; Kernel info:
; codeLenInByte = 180
; TotalNumSgprs: 14
; NumVgprs: 4
; ScratchSize: 0
; MemoryBound: 0
; FloatMode: 240
; IeeeMode: 1
; LDSByteSize: 0 bytes/workgroup (compile time only)
; SGPRBlocks: 0
; VGPRBlocks: 0
; NumSGPRsForWavesPerEU: 14
; NumVGPRsForWavesPerEU: 4
; NamedBarCnt: 0
; Occupancy: 16
; WaveLimiterHint : 1
; COMPUTE_PGM_RSRC2:SCRATCH_EN: 0
; COMPUTE_PGM_RSRC2:USER_SGPR: 2
; COMPUTE_PGM_RSRC2:TRAP_HANDLER: 0
; COMPUTE_PGM_RSRC2:TGID_X_EN: 1
; COMPUTE_PGM_RSRC2:TGID_Y_EN: 0
; COMPUTE_PGM_RSRC2:TGID_Z_EN: 0
; COMPUTE_PGM_RSRC2:TIDIG_COMP_CNT: 0
	.section	.text._ZN9rocsparseL22csr2csc_permute_kernelILj512ElijEEvT0_PKT1_PKT2_PKS1_PS2_PS5_,"axG",@progbits,_ZN9rocsparseL22csr2csc_permute_kernelILj512ElijEEvT0_PKT1_PKT2_PKS1_PS2_PS5_,comdat
	.globl	_ZN9rocsparseL22csr2csc_permute_kernelILj512ElijEEvT0_PKT1_PKT2_PKS1_PS2_PS5_ ; -- Begin function _ZN9rocsparseL22csr2csc_permute_kernelILj512ElijEEvT0_PKT1_PKT2_PKS1_PS2_PS5_
	.p2align	8
	.type	_ZN9rocsparseL22csr2csc_permute_kernelILj512ElijEEvT0_PKT1_PKT2_PKS1_PS2_PS5_,@function
_ZN9rocsparseL22csr2csc_permute_kernelILj512ElijEEvT0_PKT1_PKT2_PKS1_PS2_PS5_: ; @_ZN9rocsparseL22csr2csc_permute_kernelILj512ElijEEvT0_PKT1_PKT2_PKS1_PS2_PS5_
; %bb.0:
	s_bfe_u32 s4, ttmp6, 0x4000c
	s_load_b64 s[2:3], s[0:1], 0x0
	s_add_co_i32 s4, s4, 1
	s_and_b32 s5, ttmp6, 15
	s_mul_i32 s4, ttmp9, s4
	s_getreg_b32 s6, hwreg(HW_REG_IB_STS2, 6, 4)
	s_add_co_i32 s5, s5, s4
	s_cmp_eq_u32 s6, 0
	s_cselect_b32 s4, ttmp9, s5
	s_delay_alu instid0(SALU_CYCLE_1) | instskip(NEXT) | instid1(VALU_DEP_1)
	v_lshl_or_b32 v0, s4, 9, v0
	v_ashrrev_i32_e32 v1, 31, v0
	s_wait_kmcnt 0x0
	s_delay_alu instid0(VALU_DEP_1)
	v_cmp_gt_i64_e32 vcc_lo, s[2:3], v[0:1]
	s_and_saveexec_b32 s2, vcc_lo
	s_cbranch_execz .LBB9_2
; %bb.1:
	s_load_b256 s[4:11], s[0:1], 0x8
	s_wait_kmcnt 0x0
	v_lshl_add_u64 v[2:3], v[0:1], 3, s[8:9]
	s_load_b64 s[0:1], s[0:1], 0x28
	v_lshlrev_b64_e32 v[0:1], 2, v[0:1]
	global_load_b64 v[2:3], v[2:3], off
	s_wait_loadcnt 0x0
	v_lshlrev_b64_e32 v[2:3], 2, v[2:3]
	s_delay_alu instid0(VALU_DEP_1)
	v_add_nc_u64_e32 v[4:5], s[4:5], v[2:3]
	v_add_nc_u64_e32 v[2:3], s[6:7], v[2:3]
	global_load_b32 v6, v[4:5], off
	global_load_b32 v7, v[2:3], off
	s_wait_xcnt 0x0
	v_add_nc_u64_e32 v[2:3], s[10:11], v[0:1]
	s_wait_kmcnt 0x0
	v_add_nc_u64_e32 v[0:1], s[0:1], v[0:1]
	s_wait_loadcnt 0x1
	global_store_b32 v[2:3], v6, off
	s_wait_loadcnt 0x0
	global_store_b32 v[0:1], v7, off
.LBB9_2:
	s_endpgm
	.section	.rodata,"a",@progbits
	.p2align	6, 0x0
	.amdhsa_kernel _ZN9rocsparseL22csr2csc_permute_kernelILj512ElijEEvT0_PKT1_PKT2_PKS1_PS2_PS5_
		.amdhsa_group_segment_fixed_size 0
		.amdhsa_private_segment_fixed_size 0
		.amdhsa_kernarg_size 48
		.amdhsa_user_sgpr_count 2
		.amdhsa_user_sgpr_dispatch_ptr 0
		.amdhsa_user_sgpr_queue_ptr 0
		.amdhsa_user_sgpr_kernarg_segment_ptr 1
		.amdhsa_user_sgpr_dispatch_id 0
		.amdhsa_user_sgpr_kernarg_preload_length 0
		.amdhsa_user_sgpr_kernarg_preload_offset 0
		.amdhsa_user_sgpr_private_segment_size 0
		.amdhsa_wavefront_size32 1
		.amdhsa_uses_dynamic_stack 0
		.amdhsa_enable_private_segment 0
		.amdhsa_system_sgpr_workgroup_id_x 1
		.amdhsa_system_sgpr_workgroup_id_y 0
		.amdhsa_system_sgpr_workgroup_id_z 0
		.amdhsa_system_sgpr_workgroup_info 0
		.amdhsa_system_vgpr_workitem_id 0
		.amdhsa_next_free_vgpr 8
		.amdhsa_next_free_sgpr 12
		.amdhsa_named_barrier_count 0
		.amdhsa_reserve_vcc 1
		.amdhsa_float_round_mode_32 0
		.amdhsa_float_round_mode_16_64 0
		.amdhsa_float_denorm_mode_32 3
		.amdhsa_float_denorm_mode_16_64 3
		.amdhsa_fp16_overflow 0
		.amdhsa_memory_ordered 1
		.amdhsa_forward_progress 1
		.amdhsa_inst_pref_size 2
		.amdhsa_round_robin_scheduling 0
		.amdhsa_exception_fp_ieee_invalid_op 0
		.amdhsa_exception_fp_denorm_src 0
		.amdhsa_exception_fp_ieee_div_zero 0
		.amdhsa_exception_fp_ieee_overflow 0
		.amdhsa_exception_fp_ieee_underflow 0
		.amdhsa_exception_fp_ieee_inexact 0
		.amdhsa_exception_int_div_zero 0
	.end_amdhsa_kernel
	.section	.text._ZN9rocsparseL22csr2csc_permute_kernelILj512ElijEEvT0_PKT1_PKT2_PKS1_PS2_PS5_,"axG",@progbits,_ZN9rocsparseL22csr2csc_permute_kernelILj512ElijEEvT0_PKT1_PKT2_PKS1_PS2_PS5_,comdat
.Lfunc_end9:
	.size	_ZN9rocsparseL22csr2csc_permute_kernelILj512ElijEEvT0_PKT1_PKT2_PKS1_PS2_PS5_, .Lfunc_end9-_ZN9rocsparseL22csr2csc_permute_kernelILj512ElijEEvT0_PKT1_PKT2_PKS1_PS2_PS5_
                                        ; -- End function
	.set _ZN9rocsparseL22csr2csc_permute_kernelILj512ElijEEvT0_PKT1_PKT2_PKS1_PS2_PS5_.num_vgpr, 8
	.set _ZN9rocsparseL22csr2csc_permute_kernelILj512ElijEEvT0_PKT1_PKT2_PKS1_PS2_PS5_.num_agpr, 0
	.set _ZN9rocsparseL22csr2csc_permute_kernelILj512ElijEEvT0_PKT1_PKT2_PKS1_PS2_PS5_.numbered_sgpr, 12
	.set _ZN9rocsparseL22csr2csc_permute_kernelILj512ElijEEvT0_PKT1_PKT2_PKS1_PS2_PS5_.num_named_barrier, 0
	.set _ZN9rocsparseL22csr2csc_permute_kernelILj512ElijEEvT0_PKT1_PKT2_PKS1_PS2_PS5_.private_seg_size, 0
	.set _ZN9rocsparseL22csr2csc_permute_kernelILj512ElijEEvT0_PKT1_PKT2_PKS1_PS2_PS5_.uses_vcc, 1
	.set _ZN9rocsparseL22csr2csc_permute_kernelILj512ElijEEvT0_PKT1_PKT2_PKS1_PS2_PS5_.uses_flat_scratch, 0
	.set _ZN9rocsparseL22csr2csc_permute_kernelILj512ElijEEvT0_PKT1_PKT2_PKS1_PS2_PS5_.has_dyn_sized_stack, 0
	.set _ZN9rocsparseL22csr2csc_permute_kernelILj512ElijEEvT0_PKT1_PKT2_PKS1_PS2_PS5_.has_recursion, 0
	.set _ZN9rocsparseL22csr2csc_permute_kernelILj512ElijEEvT0_PKT1_PKT2_PKS1_PS2_PS5_.has_indirect_call, 0
	.section	.AMDGPU.csdata,"",@progbits
; Kernel info:
; codeLenInByte = 220
; TotalNumSgprs: 14
; NumVgprs: 8
; ScratchSize: 0
; MemoryBound: 0
; FloatMode: 240
; IeeeMode: 1
; LDSByteSize: 0 bytes/workgroup (compile time only)
; SGPRBlocks: 0
; VGPRBlocks: 0
; NumSGPRsForWavesPerEU: 14
; NumVGPRsForWavesPerEU: 8
; NamedBarCnt: 0
; Occupancy: 16
; WaveLimiterHint : 1
; COMPUTE_PGM_RSRC2:SCRATCH_EN: 0
; COMPUTE_PGM_RSRC2:USER_SGPR: 2
; COMPUTE_PGM_RSRC2:TRAP_HANDLER: 0
; COMPUTE_PGM_RSRC2:TGID_X_EN: 1
; COMPUTE_PGM_RSRC2:TGID_Y_EN: 0
; COMPUTE_PGM_RSRC2:TGID_Z_EN: 0
; COMPUTE_PGM_RSRC2:TIDIG_COMP_CNT: 0
	.section	.text._ZN9rocsparseL22csr2csc_permute_kernelILj512EiljEEvT0_PKT1_PKT2_PKS1_PS2_PS5_,"axG",@progbits,_ZN9rocsparseL22csr2csc_permute_kernelILj512EiljEEvT0_PKT1_PKT2_PKS1_PS2_PS5_,comdat
	.globl	_ZN9rocsparseL22csr2csc_permute_kernelILj512EiljEEvT0_PKT1_PKT2_PKS1_PS2_PS5_ ; -- Begin function _ZN9rocsparseL22csr2csc_permute_kernelILj512EiljEEvT0_PKT1_PKT2_PKS1_PS2_PS5_
	.p2align	8
	.type	_ZN9rocsparseL22csr2csc_permute_kernelILj512EiljEEvT0_PKT1_PKT2_PKS1_PS2_PS5_,@function
_ZN9rocsparseL22csr2csc_permute_kernelILj512EiljEEvT0_PKT1_PKT2_PKS1_PS2_PS5_: ; @_ZN9rocsparseL22csr2csc_permute_kernelILj512EiljEEvT0_PKT1_PKT2_PKS1_PS2_PS5_
; %bb.0:
	s_load_b32 s2, s[0:1], 0x0
	s_bfe_u32 s3, ttmp6, 0x4000c
	s_and_b32 s4, ttmp6, 15
	s_add_co_i32 s3, s3, 1
	s_getreg_b32 s5, hwreg(HW_REG_IB_STS2, 6, 4)
	s_mul_i32 s3, ttmp9, s3
	s_delay_alu instid0(SALU_CYCLE_1) | instskip(SKIP_2) | instid1(SALU_CYCLE_1)
	s_add_co_i32 s4, s4, s3
	s_cmp_eq_u32 s5, 0
	s_cselect_b32 s3, ttmp9, s4
	v_lshl_or_b32 v0, s3, 9, v0
	s_wait_kmcnt 0x0
	s_delay_alu instid0(VALU_DEP_1)
	v_cmp_gt_i32_e32 vcc_lo, s2, v0
	s_and_saveexec_b32 s2, vcc_lo
	s_cbranch_execz .LBB10_2
; %bb.1:
	s_load_b256 s[4:11], s[0:1], 0x8
	s_wait_kmcnt 0x0
	global_load_b32 v1, v0, s[8:9] scale_offset
	s_load_b64 s[0:1], s[0:1], 0x28
	s_wait_loadcnt 0x0
	s_clause 0x1
	global_load_b64 v[2:3], v1, s[4:5] scale_offset
	global_load_b32 v4, v1, s[6:7] scale_offset
	s_wait_loadcnt 0x1
	global_store_b64 v0, v[2:3], s[10:11] scale_offset
	s_wait_loadcnt 0x0
	s_wait_kmcnt 0x0
	global_store_b32 v0, v4, s[0:1] scale_offset
.LBB10_2:
	s_endpgm
	.section	.rodata,"a",@progbits
	.p2align	6, 0x0
	.amdhsa_kernel _ZN9rocsparseL22csr2csc_permute_kernelILj512EiljEEvT0_PKT1_PKT2_PKS1_PS2_PS5_
		.amdhsa_group_segment_fixed_size 0
		.amdhsa_private_segment_fixed_size 0
		.amdhsa_kernarg_size 48
		.amdhsa_user_sgpr_count 2
		.amdhsa_user_sgpr_dispatch_ptr 0
		.amdhsa_user_sgpr_queue_ptr 0
		.amdhsa_user_sgpr_kernarg_segment_ptr 1
		.amdhsa_user_sgpr_dispatch_id 0
		.amdhsa_user_sgpr_kernarg_preload_length 0
		.amdhsa_user_sgpr_kernarg_preload_offset 0
		.amdhsa_user_sgpr_private_segment_size 0
		.amdhsa_wavefront_size32 1
		.amdhsa_uses_dynamic_stack 0
		.amdhsa_enable_private_segment 0
		.amdhsa_system_sgpr_workgroup_id_x 1
		.amdhsa_system_sgpr_workgroup_id_y 0
		.amdhsa_system_sgpr_workgroup_id_z 0
		.amdhsa_system_sgpr_workgroup_info 0
		.amdhsa_system_vgpr_workitem_id 0
		.amdhsa_next_free_vgpr 5
		.amdhsa_next_free_sgpr 12
		.amdhsa_named_barrier_count 0
		.amdhsa_reserve_vcc 1
		.amdhsa_float_round_mode_32 0
		.amdhsa_float_round_mode_16_64 0
		.amdhsa_float_denorm_mode_32 3
		.amdhsa_float_denorm_mode_16_64 3
		.amdhsa_fp16_overflow 0
		.amdhsa_memory_ordered 1
		.amdhsa_forward_progress 1
		.amdhsa_inst_pref_size 2
		.amdhsa_round_robin_scheduling 0
		.amdhsa_exception_fp_ieee_invalid_op 0
		.amdhsa_exception_fp_denorm_src 0
		.amdhsa_exception_fp_ieee_div_zero 0
		.amdhsa_exception_fp_ieee_overflow 0
		.amdhsa_exception_fp_ieee_underflow 0
		.amdhsa_exception_fp_ieee_inexact 0
		.amdhsa_exception_int_div_zero 0
	.end_amdhsa_kernel
	.section	.text._ZN9rocsparseL22csr2csc_permute_kernelILj512EiljEEvT0_PKT1_PKT2_PKS1_PS2_PS5_,"axG",@progbits,_ZN9rocsparseL22csr2csc_permute_kernelILj512EiljEEvT0_PKT1_PKT2_PKS1_PS2_PS5_,comdat
.Lfunc_end10:
	.size	_ZN9rocsparseL22csr2csc_permute_kernelILj512EiljEEvT0_PKT1_PKT2_PKS1_PS2_PS5_, .Lfunc_end10-_ZN9rocsparseL22csr2csc_permute_kernelILj512EiljEEvT0_PKT1_PKT2_PKS1_PS2_PS5_
                                        ; -- End function
	.set _ZN9rocsparseL22csr2csc_permute_kernelILj512EiljEEvT0_PKT1_PKT2_PKS1_PS2_PS5_.num_vgpr, 5
	.set _ZN9rocsparseL22csr2csc_permute_kernelILj512EiljEEvT0_PKT1_PKT2_PKS1_PS2_PS5_.num_agpr, 0
	.set _ZN9rocsparseL22csr2csc_permute_kernelILj512EiljEEvT0_PKT1_PKT2_PKS1_PS2_PS5_.numbered_sgpr, 12
	.set _ZN9rocsparseL22csr2csc_permute_kernelILj512EiljEEvT0_PKT1_PKT2_PKS1_PS2_PS5_.num_named_barrier, 0
	.set _ZN9rocsparseL22csr2csc_permute_kernelILj512EiljEEvT0_PKT1_PKT2_PKS1_PS2_PS5_.private_seg_size, 0
	.set _ZN9rocsparseL22csr2csc_permute_kernelILj512EiljEEvT0_PKT1_PKT2_PKS1_PS2_PS5_.uses_vcc, 1
	.set _ZN9rocsparseL22csr2csc_permute_kernelILj512EiljEEvT0_PKT1_PKT2_PKS1_PS2_PS5_.uses_flat_scratch, 0
	.set _ZN9rocsparseL22csr2csc_permute_kernelILj512EiljEEvT0_PKT1_PKT2_PKS1_PS2_PS5_.has_dyn_sized_stack, 0
	.set _ZN9rocsparseL22csr2csc_permute_kernelILj512EiljEEvT0_PKT1_PKT2_PKS1_PS2_PS5_.has_recursion, 0
	.set _ZN9rocsparseL22csr2csc_permute_kernelILj512EiljEEvT0_PKT1_PKT2_PKS1_PS2_PS5_.has_indirect_call, 0
	.section	.AMDGPU.csdata,"",@progbits
; Kernel info:
; codeLenInByte = 180
; TotalNumSgprs: 14
; NumVgprs: 5
; ScratchSize: 0
; MemoryBound: 0
; FloatMode: 240
; IeeeMode: 1
; LDSByteSize: 0 bytes/workgroup (compile time only)
; SGPRBlocks: 0
; VGPRBlocks: 0
; NumSGPRsForWavesPerEU: 14
; NumVGPRsForWavesPerEU: 5
; NamedBarCnt: 0
; Occupancy: 16
; WaveLimiterHint : 1
; COMPUTE_PGM_RSRC2:SCRATCH_EN: 0
; COMPUTE_PGM_RSRC2:USER_SGPR: 2
; COMPUTE_PGM_RSRC2:TRAP_HANDLER: 0
; COMPUTE_PGM_RSRC2:TGID_X_EN: 1
; COMPUTE_PGM_RSRC2:TGID_Y_EN: 0
; COMPUTE_PGM_RSRC2:TGID_Z_EN: 0
; COMPUTE_PGM_RSRC2:TIDIG_COMP_CNT: 0
	.section	.text._ZN9rocsparseL22csr2csc_permute_kernelILj512ElljEEvT0_PKT1_PKT2_PKS1_PS2_PS5_,"axG",@progbits,_ZN9rocsparseL22csr2csc_permute_kernelILj512ElljEEvT0_PKT1_PKT2_PKS1_PS2_PS5_,comdat
	.globl	_ZN9rocsparseL22csr2csc_permute_kernelILj512ElljEEvT0_PKT1_PKT2_PKS1_PS2_PS5_ ; -- Begin function _ZN9rocsparseL22csr2csc_permute_kernelILj512ElljEEvT0_PKT1_PKT2_PKS1_PS2_PS5_
	.p2align	8
	.type	_ZN9rocsparseL22csr2csc_permute_kernelILj512ElljEEvT0_PKT1_PKT2_PKS1_PS2_PS5_,@function
_ZN9rocsparseL22csr2csc_permute_kernelILj512ElljEEvT0_PKT1_PKT2_PKS1_PS2_PS5_: ; @_ZN9rocsparseL22csr2csc_permute_kernelILj512ElljEEvT0_PKT1_PKT2_PKS1_PS2_PS5_
; %bb.0:
	s_bfe_u32 s4, ttmp6, 0x4000c
	s_load_b64 s[2:3], s[0:1], 0x0
	s_add_co_i32 s4, s4, 1
	s_and_b32 s5, ttmp6, 15
	s_mul_i32 s4, ttmp9, s4
	s_getreg_b32 s6, hwreg(HW_REG_IB_STS2, 6, 4)
	s_add_co_i32 s5, s5, s4
	s_cmp_eq_u32 s6, 0
	s_cselect_b32 s4, ttmp9, s5
	s_delay_alu instid0(SALU_CYCLE_1) | instskip(NEXT) | instid1(VALU_DEP_1)
	v_lshl_or_b32 v0, s4, 9, v0
	v_ashrrev_i32_e32 v1, 31, v0
	s_wait_kmcnt 0x0
	s_delay_alu instid0(VALU_DEP_1)
	v_cmp_gt_i64_e32 vcc_lo, s[2:3], v[0:1]
	s_and_saveexec_b32 s2, vcc_lo
	s_cbranch_execz .LBB11_2
; %bb.1:
	s_load_b256 s[4:11], s[0:1], 0x8
	v_lshlrev_b64_e32 v[2:3], 3, v[0:1]
	s_wait_xcnt 0x0
	s_load_b64 s[0:1], s[0:1], 0x28
	s_wait_kmcnt 0x0
	s_delay_alu instid0(VALU_DEP_1)
	v_add_nc_u64_e32 v[4:5], s[8:9], v[2:3]
	v_add_nc_u64_e32 v[2:3], s[10:11], v[2:3]
	v_lshl_add_u64 v[0:1], v[0:1], 2, s[0:1]
	global_load_b64 v[4:5], v[4:5], off
	s_wait_loadcnt 0x0
	v_lshl_add_u64 v[6:7], v[4:5], 3, s[4:5]
	v_lshl_add_u64 v[4:5], v[4:5], 2, s[6:7]
	global_load_b64 v[8:9], v[6:7], off
	global_load_b32 v10, v[4:5], off
	s_wait_loadcnt 0x1
	global_store_b64 v[2:3], v[8:9], off
	s_wait_loadcnt 0x0
	global_store_b32 v[0:1], v10, off
.LBB11_2:
	s_endpgm
	.section	.rodata,"a",@progbits
	.p2align	6, 0x0
	.amdhsa_kernel _ZN9rocsparseL22csr2csc_permute_kernelILj512ElljEEvT0_PKT1_PKT2_PKS1_PS2_PS5_
		.amdhsa_group_segment_fixed_size 0
		.amdhsa_private_segment_fixed_size 0
		.amdhsa_kernarg_size 48
		.amdhsa_user_sgpr_count 2
		.amdhsa_user_sgpr_dispatch_ptr 0
		.amdhsa_user_sgpr_queue_ptr 0
		.amdhsa_user_sgpr_kernarg_segment_ptr 1
		.amdhsa_user_sgpr_dispatch_id 0
		.amdhsa_user_sgpr_kernarg_preload_length 0
		.amdhsa_user_sgpr_kernarg_preload_offset 0
		.amdhsa_user_sgpr_private_segment_size 0
		.amdhsa_wavefront_size32 1
		.amdhsa_uses_dynamic_stack 0
		.amdhsa_enable_private_segment 0
		.amdhsa_system_sgpr_workgroup_id_x 1
		.amdhsa_system_sgpr_workgroup_id_y 0
		.amdhsa_system_sgpr_workgroup_id_z 0
		.amdhsa_system_sgpr_workgroup_info 0
		.amdhsa_system_vgpr_workitem_id 0
		.amdhsa_next_free_vgpr 11
		.amdhsa_next_free_sgpr 12
		.amdhsa_named_barrier_count 0
		.amdhsa_reserve_vcc 1
		.amdhsa_float_round_mode_32 0
		.amdhsa_float_round_mode_16_64 0
		.amdhsa_float_denorm_mode_32 3
		.amdhsa_float_denorm_mode_16_64 3
		.amdhsa_fp16_overflow 0
		.amdhsa_memory_ordered 1
		.amdhsa_forward_progress 1
		.amdhsa_inst_pref_size 2
		.amdhsa_round_robin_scheduling 0
		.amdhsa_exception_fp_ieee_invalid_op 0
		.amdhsa_exception_fp_denorm_src 0
		.amdhsa_exception_fp_ieee_div_zero 0
		.amdhsa_exception_fp_ieee_overflow 0
		.amdhsa_exception_fp_ieee_underflow 0
		.amdhsa_exception_fp_ieee_inexact 0
		.amdhsa_exception_int_div_zero 0
	.end_amdhsa_kernel
	.section	.text._ZN9rocsparseL22csr2csc_permute_kernelILj512ElljEEvT0_PKT1_PKT2_PKS1_PS2_PS5_,"axG",@progbits,_ZN9rocsparseL22csr2csc_permute_kernelILj512ElljEEvT0_PKT1_PKT2_PKS1_PS2_PS5_,comdat
.Lfunc_end11:
	.size	_ZN9rocsparseL22csr2csc_permute_kernelILj512ElljEEvT0_PKT1_PKT2_PKS1_PS2_PS5_, .Lfunc_end11-_ZN9rocsparseL22csr2csc_permute_kernelILj512ElljEEvT0_PKT1_PKT2_PKS1_PS2_PS5_
                                        ; -- End function
	.set _ZN9rocsparseL22csr2csc_permute_kernelILj512ElljEEvT0_PKT1_PKT2_PKS1_PS2_PS5_.num_vgpr, 11
	.set _ZN9rocsparseL22csr2csc_permute_kernelILj512ElljEEvT0_PKT1_PKT2_PKS1_PS2_PS5_.num_agpr, 0
	.set _ZN9rocsparseL22csr2csc_permute_kernelILj512ElljEEvT0_PKT1_PKT2_PKS1_PS2_PS5_.numbered_sgpr, 12
	.set _ZN9rocsparseL22csr2csc_permute_kernelILj512ElljEEvT0_PKT1_PKT2_PKS1_PS2_PS5_.num_named_barrier, 0
	.set _ZN9rocsparseL22csr2csc_permute_kernelILj512ElljEEvT0_PKT1_PKT2_PKS1_PS2_PS5_.private_seg_size, 0
	.set _ZN9rocsparseL22csr2csc_permute_kernelILj512ElljEEvT0_PKT1_PKT2_PKS1_PS2_PS5_.uses_vcc, 1
	.set _ZN9rocsparseL22csr2csc_permute_kernelILj512ElljEEvT0_PKT1_PKT2_PKS1_PS2_PS5_.uses_flat_scratch, 0
	.set _ZN9rocsparseL22csr2csc_permute_kernelILj512ElljEEvT0_PKT1_PKT2_PKS1_PS2_PS5_.has_dyn_sized_stack, 0
	.set _ZN9rocsparseL22csr2csc_permute_kernelILj512ElljEEvT0_PKT1_PKT2_PKS1_PS2_PS5_.has_recursion, 0
	.set _ZN9rocsparseL22csr2csc_permute_kernelILj512ElljEEvT0_PKT1_PKT2_PKS1_PS2_PS5_.has_indirect_call, 0
	.section	.AMDGPU.csdata,"",@progbits
; Kernel info:
; codeLenInByte = 220
; TotalNumSgprs: 14
; NumVgprs: 11
; ScratchSize: 0
; MemoryBound: 0
; FloatMode: 240
; IeeeMode: 1
; LDSByteSize: 0 bytes/workgroup (compile time only)
; SGPRBlocks: 0
; VGPRBlocks: 0
; NumSGPRsForWavesPerEU: 14
; NumVGPRsForWavesPerEU: 11
; NamedBarCnt: 0
; Occupancy: 16
; WaveLimiterHint : 1
; COMPUTE_PGM_RSRC2:SCRATCH_EN: 0
; COMPUTE_PGM_RSRC2:USER_SGPR: 2
; COMPUTE_PGM_RSRC2:TRAP_HANDLER: 0
; COMPUTE_PGM_RSRC2:TGID_X_EN: 1
; COMPUTE_PGM_RSRC2:TGID_Y_EN: 0
; COMPUTE_PGM_RSRC2:TGID_Z_EN: 0
; COMPUTE_PGM_RSRC2:TIDIG_COMP_CNT: 0
	.section	.text._ZN9rocsparseL22csr2csc_permute_kernelILj512EiiiEEvT0_PKT1_PKT2_PKS1_PS2_PS5_,"axG",@progbits,_ZN9rocsparseL22csr2csc_permute_kernelILj512EiiiEEvT0_PKT1_PKT2_PKS1_PS2_PS5_,comdat
	.globl	_ZN9rocsparseL22csr2csc_permute_kernelILj512EiiiEEvT0_PKT1_PKT2_PKS1_PS2_PS5_ ; -- Begin function _ZN9rocsparseL22csr2csc_permute_kernelILj512EiiiEEvT0_PKT1_PKT2_PKS1_PS2_PS5_
	.p2align	8
	.type	_ZN9rocsparseL22csr2csc_permute_kernelILj512EiiiEEvT0_PKT1_PKT2_PKS1_PS2_PS5_,@function
_ZN9rocsparseL22csr2csc_permute_kernelILj512EiiiEEvT0_PKT1_PKT2_PKS1_PS2_PS5_: ; @_ZN9rocsparseL22csr2csc_permute_kernelILj512EiiiEEvT0_PKT1_PKT2_PKS1_PS2_PS5_
; %bb.0:
	s_load_b32 s2, s[0:1], 0x0
	s_bfe_u32 s3, ttmp6, 0x4000c
	s_and_b32 s4, ttmp6, 15
	s_add_co_i32 s3, s3, 1
	s_getreg_b32 s5, hwreg(HW_REG_IB_STS2, 6, 4)
	s_mul_i32 s3, ttmp9, s3
	s_delay_alu instid0(SALU_CYCLE_1) | instskip(SKIP_2) | instid1(SALU_CYCLE_1)
	s_add_co_i32 s4, s4, s3
	s_cmp_eq_u32 s5, 0
	s_cselect_b32 s3, ttmp9, s4
	v_lshl_or_b32 v0, s3, 9, v0
	s_wait_kmcnt 0x0
	s_delay_alu instid0(VALU_DEP_1)
	v_cmp_gt_i32_e32 vcc_lo, s2, v0
	s_and_saveexec_b32 s2, vcc_lo
	s_cbranch_execz .LBB12_2
; %bb.1:
	s_load_b256 s[4:11], s[0:1], 0x8
	s_wait_kmcnt 0x0
	global_load_b32 v1, v0, s[8:9] scale_offset
	s_load_b64 s[0:1], s[0:1], 0x28
	s_wait_loadcnt 0x0
	s_clause 0x1
	global_load_b32 v2, v1, s[4:5] scale_offset
	global_load_b32 v3, v1, s[6:7] scale_offset
	s_wait_loadcnt 0x1
	global_store_b32 v0, v2, s[10:11] scale_offset
	s_wait_loadcnt 0x0
	s_wait_kmcnt 0x0
	global_store_b32 v0, v3, s[0:1] scale_offset
.LBB12_2:
	s_endpgm
	.section	.rodata,"a",@progbits
	.p2align	6, 0x0
	.amdhsa_kernel _ZN9rocsparseL22csr2csc_permute_kernelILj512EiiiEEvT0_PKT1_PKT2_PKS1_PS2_PS5_
		.amdhsa_group_segment_fixed_size 0
		.amdhsa_private_segment_fixed_size 0
		.amdhsa_kernarg_size 48
		.amdhsa_user_sgpr_count 2
		.amdhsa_user_sgpr_dispatch_ptr 0
		.amdhsa_user_sgpr_queue_ptr 0
		.amdhsa_user_sgpr_kernarg_segment_ptr 1
		.amdhsa_user_sgpr_dispatch_id 0
		.amdhsa_user_sgpr_kernarg_preload_length 0
		.amdhsa_user_sgpr_kernarg_preload_offset 0
		.amdhsa_user_sgpr_private_segment_size 0
		.amdhsa_wavefront_size32 1
		.amdhsa_uses_dynamic_stack 0
		.amdhsa_enable_private_segment 0
		.amdhsa_system_sgpr_workgroup_id_x 1
		.amdhsa_system_sgpr_workgroup_id_y 0
		.amdhsa_system_sgpr_workgroup_id_z 0
		.amdhsa_system_sgpr_workgroup_info 0
		.amdhsa_system_vgpr_workitem_id 0
		.amdhsa_next_free_vgpr 4
		.amdhsa_next_free_sgpr 12
		.amdhsa_named_barrier_count 0
		.amdhsa_reserve_vcc 1
		.amdhsa_float_round_mode_32 0
		.amdhsa_float_round_mode_16_64 0
		.amdhsa_float_denorm_mode_32 3
		.amdhsa_float_denorm_mode_16_64 3
		.amdhsa_fp16_overflow 0
		.amdhsa_memory_ordered 1
		.amdhsa_forward_progress 1
		.amdhsa_inst_pref_size 2
		.amdhsa_round_robin_scheduling 0
		.amdhsa_exception_fp_ieee_invalid_op 0
		.amdhsa_exception_fp_denorm_src 0
		.amdhsa_exception_fp_ieee_div_zero 0
		.amdhsa_exception_fp_ieee_overflow 0
		.amdhsa_exception_fp_ieee_underflow 0
		.amdhsa_exception_fp_ieee_inexact 0
		.amdhsa_exception_int_div_zero 0
	.end_amdhsa_kernel
	.section	.text._ZN9rocsparseL22csr2csc_permute_kernelILj512EiiiEEvT0_PKT1_PKT2_PKS1_PS2_PS5_,"axG",@progbits,_ZN9rocsparseL22csr2csc_permute_kernelILj512EiiiEEvT0_PKT1_PKT2_PKS1_PS2_PS5_,comdat
.Lfunc_end12:
	.size	_ZN9rocsparseL22csr2csc_permute_kernelILj512EiiiEEvT0_PKT1_PKT2_PKS1_PS2_PS5_, .Lfunc_end12-_ZN9rocsparseL22csr2csc_permute_kernelILj512EiiiEEvT0_PKT1_PKT2_PKS1_PS2_PS5_
                                        ; -- End function
	.set _ZN9rocsparseL22csr2csc_permute_kernelILj512EiiiEEvT0_PKT1_PKT2_PKS1_PS2_PS5_.num_vgpr, 4
	.set _ZN9rocsparseL22csr2csc_permute_kernelILj512EiiiEEvT0_PKT1_PKT2_PKS1_PS2_PS5_.num_agpr, 0
	.set _ZN9rocsparseL22csr2csc_permute_kernelILj512EiiiEEvT0_PKT1_PKT2_PKS1_PS2_PS5_.numbered_sgpr, 12
	.set _ZN9rocsparseL22csr2csc_permute_kernelILj512EiiiEEvT0_PKT1_PKT2_PKS1_PS2_PS5_.num_named_barrier, 0
	.set _ZN9rocsparseL22csr2csc_permute_kernelILj512EiiiEEvT0_PKT1_PKT2_PKS1_PS2_PS5_.private_seg_size, 0
	.set _ZN9rocsparseL22csr2csc_permute_kernelILj512EiiiEEvT0_PKT1_PKT2_PKS1_PS2_PS5_.uses_vcc, 1
	.set _ZN9rocsparseL22csr2csc_permute_kernelILj512EiiiEEvT0_PKT1_PKT2_PKS1_PS2_PS5_.uses_flat_scratch, 0
	.set _ZN9rocsparseL22csr2csc_permute_kernelILj512EiiiEEvT0_PKT1_PKT2_PKS1_PS2_PS5_.has_dyn_sized_stack, 0
	.set _ZN9rocsparseL22csr2csc_permute_kernelILj512EiiiEEvT0_PKT1_PKT2_PKS1_PS2_PS5_.has_recursion, 0
	.set _ZN9rocsparseL22csr2csc_permute_kernelILj512EiiiEEvT0_PKT1_PKT2_PKS1_PS2_PS5_.has_indirect_call, 0
	.section	.AMDGPU.csdata,"",@progbits
; Kernel info:
; codeLenInByte = 180
; TotalNumSgprs: 14
; NumVgprs: 4
; ScratchSize: 0
; MemoryBound: 0
; FloatMode: 240
; IeeeMode: 1
; LDSByteSize: 0 bytes/workgroup (compile time only)
; SGPRBlocks: 0
; VGPRBlocks: 0
; NumSGPRsForWavesPerEU: 14
; NumVGPRsForWavesPerEU: 4
; NamedBarCnt: 0
; Occupancy: 16
; WaveLimiterHint : 1
; COMPUTE_PGM_RSRC2:SCRATCH_EN: 0
; COMPUTE_PGM_RSRC2:USER_SGPR: 2
; COMPUTE_PGM_RSRC2:TRAP_HANDLER: 0
; COMPUTE_PGM_RSRC2:TGID_X_EN: 1
; COMPUTE_PGM_RSRC2:TGID_Y_EN: 0
; COMPUTE_PGM_RSRC2:TGID_Z_EN: 0
; COMPUTE_PGM_RSRC2:TIDIG_COMP_CNT: 0
	.section	.text._ZN9rocsparseL22csr2csc_permute_kernelILj512EliiEEvT0_PKT1_PKT2_PKS1_PS2_PS5_,"axG",@progbits,_ZN9rocsparseL22csr2csc_permute_kernelILj512EliiEEvT0_PKT1_PKT2_PKS1_PS2_PS5_,comdat
	.globl	_ZN9rocsparseL22csr2csc_permute_kernelILj512EliiEEvT0_PKT1_PKT2_PKS1_PS2_PS5_ ; -- Begin function _ZN9rocsparseL22csr2csc_permute_kernelILj512EliiEEvT0_PKT1_PKT2_PKS1_PS2_PS5_
	.p2align	8
	.type	_ZN9rocsparseL22csr2csc_permute_kernelILj512EliiEEvT0_PKT1_PKT2_PKS1_PS2_PS5_,@function
_ZN9rocsparseL22csr2csc_permute_kernelILj512EliiEEvT0_PKT1_PKT2_PKS1_PS2_PS5_: ; @_ZN9rocsparseL22csr2csc_permute_kernelILj512EliiEEvT0_PKT1_PKT2_PKS1_PS2_PS5_
; %bb.0:
	s_bfe_u32 s4, ttmp6, 0x4000c
	s_load_b64 s[2:3], s[0:1], 0x0
	s_add_co_i32 s4, s4, 1
	s_and_b32 s5, ttmp6, 15
	s_mul_i32 s4, ttmp9, s4
	s_getreg_b32 s6, hwreg(HW_REG_IB_STS2, 6, 4)
	s_add_co_i32 s5, s5, s4
	s_cmp_eq_u32 s6, 0
	s_cselect_b32 s4, ttmp9, s5
	s_delay_alu instid0(SALU_CYCLE_1) | instskip(NEXT) | instid1(VALU_DEP_1)
	v_lshl_or_b32 v0, s4, 9, v0
	v_ashrrev_i32_e32 v1, 31, v0
	s_wait_kmcnt 0x0
	s_delay_alu instid0(VALU_DEP_1)
	v_cmp_gt_i64_e32 vcc_lo, s[2:3], v[0:1]
	s_and_saveexec_b32 s2, vcc_lo
	s_cbranch_execz .LBB13_2
; %bb.1:
	s_load_b256 s[4:11], s[0:1], 0x8
	s_wait_kmcnt 0x0
	v_lshl_add_u64 v[2:3], v[0:1], 3, s[8:9]
	s_load_b64 s[0:1], s[0:1], 0x28
	v_lshlrev_b64_e32 v[0:1], 2, v[0:1]
	global_load_b64 v[2:3], v[2:3], off
	s_wait_loadcnt 0x0
	v_lshlrev_b64_e32 v[2:3], 2, v[2:3]
	s_delay_alu instid0(VALU_DEP_1)
	v_add_nc_u64_e32 v[4:5], s[4:5], v[2:3]
	v_add_nc_u64_e32 v[2:3], s[6:7], v[2:3]
	global_load_b32 v6, v[4:5], off
	global_load_b32 v7, v[2:3], off
	s_wait_xcnt 0x0
	v_add_nc_u64_e32 v[2:3], s[10:11], v[0:1]
	s_wait_kmcnt 0x0
	v_add_nc_u64_e32 v[0:1], s[0:1], v[0:1]
	s_wait_loadcnt 0x1
	global_store_b32 v[2:3], v6, off
	s_wait_loadcnt 0x0
	global_store_b32 v[0:1], v7, off
.LBB13_2:
	s_endpgm
	.section	.rodata,"a",@progbits
	.p2align	6, 0x0
	.amdhsa_kernel _ZN9rocsparseL22csr2csc_permute_kernelILj512EliiEEvT0_PKT1_PKT2_PKS1_PS2_PS5_
		.amdhsa_group_segment_fixed_size 0
		.amdhsa_private_segment_fixed_size 0
		.amdhsa_kernarg_size 48
		.amdhsa_user_sgpr_count 2
		.amdhsa_user_sgpr_dispatch_ptr 0
		.amdhsa_user_sgpr_queue_ptr 0
		.amdhsa_user_sgpr_kernarg_segment_ptr 1
		.amdhsa_user_sgpr_dispatch_id 0
		.amdhsa_user_sgpr_kernarg_preload_length 0
		.amdhsa_user_sgpr_kernarg_preload_offset 0
		.amdhsa_user_sgpr_private_segment_size 0
		.amdhsa_wavefront_size32 1
		.amdhsa_uses_dynamic_stack 0
		.amdhsa_enable_private_segment 0
		.amdhsa_system_sgpr_workgroup_id_x 1
		.amdhsa_system_sgpr_workgroup_id_y 0
		.amdhsa_system_sgpr_workgroup_id_z 0
		.amdhsa_system_sgpr_workgroup_info 0
		.amdhsa_system_vgpr_workitem_id 0
		.amdhsa_next_free_vgpr 8
		.amdhsa_next_free_sgpr 12
		.amdhsa_named_barrier_count 0
		.amdhsa_reserve_vcc 1
		.amdhsa_float_round_mode_32 0
		.amdhsa_float_round_mode_16_64 0
		.amdhsa_float_denorm_mode_32 3
		.amdhsa_float_denorm_mode_16_64 3
		.amdhsa_fp16_overflow 0
		.amdhsa_memory_ordered 1
		.amdhsa_forward_progress 1
		.amdhsa_inst_pref_size 2
		.amdhsa_round_robin_scheduling 0
		.amdhsa_exception_fp_ieee_invalid_op 0
		.amdhsa_exception_fp_denorm_src 0
		.amdhsa_exception_fp_ieee_div_zero 0
		.amdhsa_exception_fp_ieee_overflow 0
		.amdhsa_exception_fp_ieee_underflow 0
		.amdhsa_exception_fp_ieee_inexact 0
		.amdhsa_exception_int_div_zero 0
	.end_amdhsa_kernel
	.section	.text._ZN9rocsparseL22csr2csc_permute_kernelILj512EliiEEvT0_PKT1_PKT2_PKS1_PS2_PS5_,"axG",@progbits,_ZN9rocsparseL22csr2csc_permute_kernelILj512EliiEEvT0_PKT1_PKT2_PKS1_PS2_PS5_,comdat
.Lfunc_end13:
	.size	_ZN9rocsparseL22csr2csc_permute_kernelILj512EliiEEvT0_PKT1_PKT2_PKS1_PS2_PS5_, .Lfunc_end13-_ZN9rocsparseL22csr2csc_permute_kernelILj512EliiEEvT0_PKT1_PKT2_PKS1_PS2_PS5_
                                        ; -- End function
	.set _ZN9rocsparseL22csr2csc_permute_kernelILj512EliiEEvT0_PKT1_PKT2_PKS1_PS2_PS5_.num_vgpr, 8
	.set _ZN9rocsparseL22csr2csc_permute_kernelILj512EliiEEvT0_PKT1_PKT2_PKS1_PS2_PS5_.num_agpr, 0
	.set _ZN9rocsparseL22csr2csc_permute_kernelILj512EliiEEvT0_PKT1_PKT2_PKS1_PS2_PS5_.numbered_sgpr, 12
	.set _ZN9rocsparseL22csr2csc_permute_kernelILj512EliiEEvT0_PKT1_PKT2_PKS1_PS2_PS5_.num_named_barrier, 0
	.set _ZN9rocsparseL22csr2csc_permute_kernelILj512EliiEEvT0_PKT1_PKT2_PKS1_PS2_PS5_.private_seg_size, 0
	.set _ZN9rocsparseL22csr2csc_permute_kernelILj512EliiEEvT0_PKT1_PKT2_PKS1_PS2_PS5_.uses_vcc, 1
	.set _ZN9rocsparseL22csr2csc_permute_kernelILj512EliiEEvT0_PKT1_PKT2_PKS1_PS2_PS5_.uses_flat_scratch, 0
	.set _ZN9rocsparseL22csr2csc_permute_kernelILj512EliiEEvT0_PKT1_PKT2_PKS1_PS2_PS5_.has_dyn_sized_stack, 0
	.set _ZN9rocsparseL22csr2csc_permute_kernelILj512EliiEEvT0_PKT1_PKT2_PKS1_PS2_PS5_.has_recursion, 0
	.set _ZN9rocsparseL22csr2csc_permute_kernelILj512EliiEEvT0_PKT1_PKT2_PKS1_PS2_PS5_.has_indirect_call, 0
	.section	.AMDGPU.csdata,"",@progbits
; Kernel info:
; codeLenInByte = 220
; TotalNumSgprs: 14
; NumVgprs: 8
; ScratchSize: 0
; MemoryBound: 0
; FloatMode: 240
; IeeeMode: 1
; LDSByteSize: 0 bytes/workgroup (compile time only)
; SGPRBlocks: 0
; VGPRBlocks: 0
; NumSGPRsForWavesPerEU: 14
; NumVGPRsForWavesPerEU: 8
; NamedBarCnt: 0
; Occupancy: 16
; WaveLimiterHint : 1
; COMPUTE_PGM_RSRC2:SCRATCH_EN: 0
; COMPUTE_PGM_RSRC2:USER_SGPR: 2
; COMPUTE_PGM_RSRC2:TRAP_HANDLER: 0
; COMPUTE_PGM_RSRC2:TGID_X_EN: 1
; COMPUTE_PGM_RSRC2:TGID_Y_EN: 0
; COMPUTE_PGM_RSRC2:TGID_Z_EN: 0
; COMPUTE_PGM_RSRC2:TIDIG_COMP_CNT: 0
	.section	.text._ZN9rocsparseL22csr2csc_permute_kernelILj512EiliEEvT0_PKT1_PKT2_PKS1_PS2_PS5_,"axG",@progbits,_ZN9rocsparseL22csr2csc_permute_kernelILj512EiliEEvT0_PKT1_PKT2_PKS1_PS2_PS5_,comdat
	.globl	_ZN9rocsparseL22csr2csc_permute_kernelILj512EiliEEvT0_PKT1_PKT2_PKS1_PS2_PS5_ ; -- Begin function _ZN9rocsparseL22csr2csc_permute_kernelILj512EiliEEvT0_PKT1_PKT2_PKS1_PS2_PS5_
	.p2align	8
	.type	_ZN9rocsparseL22csr2csc_permute_kernelILj512EiliEEvT0_PKT1_PKT2_PKS1_PS2_PS5_,@function
_ZN9rocsparseL22csr2csc_permute_kernelILj512EiliEEvT0_PKT1_PKT2_PKS1_PS2_PS5_: ; @_ZN9rocsparseL22csr2csc_permute_kernelILj512EiliEEvT0_PKT1_PKT2_PKS1_PS2_PS5_
; %bb.0:
	s_load_b32 s2, s[0:1], 0x0
	s_bfe_u32 s3, ttmp6, 0x4000c
	s_and_b32 s4, ttmp6, 15
	s_add_co_i32 s3, s3, 1
	s_getreg_b32 s5, hwreg(HW_REG_IB_STS2, 6, 4)
	s_mul_i32 s3, ttmp9, s3
	s_delay_alu instid0(SALU_CYCLE_1) | instskip(SKIP_2) | instid1(SALU_CYCLE_1)
	s_add_co_i32 s4, s4, s3
	s_cmp_eq_u32 s5, 0
	s_cselect_b32 s3, ttmp9, s4
	v_lshl_or_b32 v0, s3, 9, v0
	s_wait_kmcnt 0x0
	s_delay_alu instid0(VALU_DEP_1)
	v_cmp_gt_i32_e32 vcc_lo, s2, v0
	s_and_saveexec_b32 s2, vcc_lo
	s_cbranch_execz .LBB14_2
; %bb.1:
	s_load_b256 s[4:11], s[0:1], 0x8
	s_wait_kmcnt 0x0
	global_load_b32 v1, v0, s[8:9] scale_offset
	s_load_b64 s[0:1], s[0:1], 0x28
	s_wait_loadcnt 0x0
	s_clause 0x1
	global_load_b64 v[2:3], v1, s[4:5] scale_offset
	global_load_b32 v4, v1, s[6:7] scale_offset
	s_wait_loadcnt 0x1
	global_store_b64 v0, v[2:3], s[10:11] scale_offset
	s_wait_loadcnt 0x0
	s_wait_kmcnt 0x0
	global_store_b32 v0, v4, s[0:1] scale_offset
.LBB14_2:
	s_endpgm
	.section	.rodata,"a",@progbits
	.p2align	6, 0x0
	.amdhsa_kernel _ZN9rocsparseL22csr2csc_permute_kernelILj512EiliEEvT0_PKT1_PKT2_PKS1_PS2_PS5_
		.amdhsa_group_segment_fixed_size 0
		.amdhsa_private_segment_fixed_size 0
		.amdhsa_kernarg_size 48
		.amdhsa_user_sgpr_count 2
		.amdhsa_user_sgpr_dispatch_ptr 0
		.amdhsa_user_sgpr_queue_ptr 0
		.amdhsa_user_sgpr_kernarg_segment_ptr 1
		.amdhsa_user_sgpr_dispatch_id 0
		.amdhsa_user_sgpr_kernarg_preload_length 0
		.amdhsa_user_sgpr_kernarg_preload_offset 0
		.amdhsa_user_sgpr_private_segment_size 0
		.amdhsa_wavefront_size32 1
		.amdhsa_uses_dynamic_stack 0
		.amdhsa_enable_private_segment 0
		.amdhsa_system_sgpr_workgroup_id_x 1
		.amdhsa_system_sgpr_workgroup_id_y 0
		.amdhsa_system_sgpr_workgroup_id_z 0
		.amdhsa_system_sgpr_workgroup_info 0
		.amdhsa_system_vgpr_workitem_id 0
		.amdhsa_next_free_vgpr 5
		.amdhsa_next_free_sgpr 12
		.amdhsa_named_barrier_count 0
		.amdhsa_reserve_vcc 1
		.amdhsa_float_round_mode_32 0
		.amdhsa_float_round_mode_16_64 0
		.amdhsa_float_denorm_mode_32 3
		.amdhsa_float_denorm_mode_16_64 3
		.amdhsa_fp16_overflow 0
		.amdhsa_memory_ordered 1
		.amdhsa_forward_progress 1
		.amdhsa_inst_pref_size 2
		.amdhsa_round_robin_scheduling 0
		.amdhsa_exception_fp_ieee_invalid_op 0
		.amdhsa_exception_fp_denorm_src 0
		.amdhsa_exception_fp_ieee_div_zero 0
		.amdhsa_exception_fp_ieee_overflow 0
		.amdhsa_exception_fp_ieee_underflow 0
		.amdhsa_exception_fp_ieee_inexact 0
		.amdhsa_exception_int_div_zero 0
	.end_amdhsa_kernel
	.section	.text._ZN9rocsparseL22csr2csc_permute_kernelILj512EiliEEvT0_PKT1_PKT2_PKS1_PS2_PS5_,"axG",@progbits,_ZN9rocsparseL22csr2csc_permute_kernelILj512EiliEEvT0_PKT1_PKT2_PKS1_PS2_PS5_,comdat
.Lfunc_end14:
	.size	_ZN9rocsparseL22csr2csc_permute_kernelILj512EiliEEvT0_PKT1_PKT2_PKS1_PS2_PS5_, .Lfunc_end14-_ZN9rocsparseL22csr2csc_permute_kernelILj512EiliEEvT0_PKT1_PKT2_PKS1_PS2_PS5_
                                        ; -- End function
	.set _ZN9rocsparseL22csr2csc_permute_kernelILj512EiliEEvT0_PKT1_PKT2_PKS1_PS2_PS5_.num_vgpr, 5
	.set _ZN9rocsparseL22csr2csc_permute_kernelILj512EiliEEvT0_PKT1_PKT2_PKS1_PS2_PS5_.num_agpr, 0
	.set _ZN9rocsparseL22csr2csc_permute_kernelILj512EiliEEvT0_PKT1_PKT2_PKS1_PS2_PS5_.numbered_sgpr, 12
	.set _ZN9rocsparseL22csr2csc_permute_kernelILj512EiliEEvT0_PKT1_PKT2_PKS1_PS2_PS5_.num_named_barrier, 0
	.set _ZN9rocsparseL22csr2csc_permute_kernelILj512EiliEEvT0_PKT1_PKT2_PKS1_PS2_PS5_.private_seg_size, 0
	.set _ZN9rocsparseL22csr2csc_permute_kernelILj512EiliEEvT0_PKT1_PKT2_PKS1_PS2_PS5_.uses_vcc, 1
	.set _ZN9rocsparseL22csr2csc_permute_kernelILj512EiliEEvT0_PKT1_PKT2_PKS1_PS2_PS5_.uses_flat_scratch, 0
	.set _ZN9rocsparseL22csr2csc_permute_kernelILj512EiliEEvT0_PKT1_PKT2_PKS1_PS2_PS5_.has_dyn_sized_stack, 0
	.set _ZN9rocsparseL22csr2csc_permute_kernelILj512EiliEEvT0_PKT1_PKT2_PKS1_PS2_PS5_.has_recursion, 0
	.set _ZN9rocsparseL22csr2csc_permute_kernelILj512EiliEEvT0_PKT1_PKT2_PKS1_PS2_PS5_.has_indirect_call, 0
	.section	.AMDGPU.csdata,"",@progbits
; Kernel info:
; codeLenInByte = 180
; TotalNumSgprs: 14
; NumVgprs: 5
; ScratchSize: 0
; MemoryBound: 0
; FloatMode: 240
; IeeeMode: 1
; LDSByteSize: 0 bytes/workgroup (compile time only)
; SGPRBlocks: 0
; VGPRBlocks: 0
; NumSGPRsForWavesPerEU: 14
; NumVGPRsForWavesPerEU: 5
; NamedBarCnt: 0
; Occupancy: 16
; WaveLimiterHint : 1
; COMPUTE_PGM_RSRC2:SCRATCH_EN: 0
; COMPUTE_PGM_RSRC2:USER_SGPR: 2
; COMPUTE_PGM_RSRC2:TRAP_HANDLER: 0
; COMPUTE_PGM_RSRC2:TGID_X_EN: 1
; COMPUTE_PGM_RSRC2:TGID_Y_EN: 0
; COMPUTE_PGM_RSRC2:TGID_Z_EN: 0
; COMPUTE_PGM_RSRC2:TIDIG_COMP_CNT: 0
	.section	.text._ZN9rocsparseL22csr2csc_permute_kernelILj512ElliEEvT0_PKT1_PKT2_PKS1_PS2_PS5_,"axG",@progbits,_ZN9rocsparseL22csr2csc_permute_kernelILj512ElliEEvT0_PKT1_PKT2_PKS1_PS2_PS5_,comdat
	.globl	_ZN9rocsparseL22csr2csc_permute_kernelILj512ElliEEvT0_PKT1_PKT2_PKS1_PS2_PS5_ ; -- Begin function _ZN9rocsparseL22csr2csc_permute_kernelILj512ElliEEvT0_PKT1_PKT2_PKS1_PS2_PS5_
	.p2align	8
	.type	_ZN9rocsparseL22csr2csc_permute_kernelILj512ElliEEvT0_PKT1_PKT2_PKS1_PS2_PS5_,@function
_ZN9rocsparseL22csr2csc_permute_kernelILj512ElliEEvT0_PKT1_PKT2_PKS1_PS2_PS5_: ; @_ZN9rocsparseL22csr2csc_permute_kernelILj512ElliEEvT0_PKT1_PKT2_PKS1_PS2_PS5_
; %bb.0:
	s_bfe_u32 s4, ttmp6, 0x4000c
	s_load_b64 s[2:3], s[0:1], 0x0
	s_add_co_i32 s4, s4, 1
	s_and_b32 s5, ttmp6, 15
	s_mul_i32 s4, ttmp9, s4
	s_getreg_b32 s6, hwreg(HW_REG_IB_STS2, 6, 4)
	s_add_co_i32 s5, s5, s4
	s_cmp_eq_u32 s6, 0
	s_cselect_b32 s4, ttmp9, s5
	s_delay_alu instid0(SALU_CYCLE_1) | instskip(NEXT) | instid1(VALU_DEP_1)
	v_lshl_or_b32 v0, s4, 9, v0
	v_ashrrev_i32_e32 v1, 31, v0
	s_wait_kmcnt 0x0
	s_delay_alu instid0(VALU_DEP_1)
	v_cmp_gt_i64_e32 vcc_lo, s[2:3], v[0:1]
	s_and_saveexec_b32 s2, vcc_lo
	s_cbranch_execz .LBB15_2
; %bb.1:
	s_load_b256 s[4:11], s[0:1], 0x8
	v_lshlrev_b64_e32 v[2:3], 3, v[0:1]
	s_wait_xcnt 0x0
	s_load_b64 s[0:1], s[0:1], 0x28
	s_wait_kmcnt 0x0
	s_delay_alu instid0(VALU_DEP_1)
	v_add_nc_u64_e32 v[4:5], s[8:9], v[2:3]
	v_add_nc_u64_e32 v[2:3], s[10:11], v[2:3]
	v_lshl_add_u64 v[0:1], v[0:1], 2, s[0:1]
	global_load_b64 v[4:5], v[4:5], off
	s_wait_loadcnt 0x0
	v_lshl_add_u64 v[6:7], v[4:5], 3, s[4:5]
	v_lshl_add_u64 v[4:5], v[4:5], 2, s[6:7]
	global_load_b64 v[8:9], v[6:7], off
	global_load_b32 v10, v[4:5], off
	s_wait_loadcnt 0x1
	global_store_b64 v[2:3], v[8:9], off
	s_wait_loadcnt 0x0
	global_store_b32 v[0:1], v10, off
.LBB15_2:
	s_endpgm
	.section	.rodata,"a",@progbits
	.p2align	6, 0x0
	.amdhsa_kernel _ZN9rocsparseL22csr2csc_permute_kernelILj512ElliEEvT0_PKT1_PKT2_PKS1_PS2_PS5_
		.amdhsa_group_segment_fixed_size 0
		.amdhsa_private_segment_fixed_size 0
		.amdhsa_kernarg_size 48
		.amdhsa_user_sgpr_count 2
		.amdhsa_user_sgpr_dispatch_ptr 0
		.amdhsa_user_sgpr_queue_ptr 0
		.amdhsa_user_sgpr_kernarg_segment_ptr 1
		.amdhsa_user_sgpr_dispatch_id 0
		.amdhsa_user_sgpr_kernarg_preload_length 0
		.amdhsa_user_sgpr_kernarg_preload_offset 0
		.amdhsa_user_sgpr_private_segment_size 0
		.amdhsa_wavefront_size32 1
		.amdhsa_uses_dynamic_stack 0
		.amdhsa_enable_private_segment 0
		.amdhsa_system_sgpr_workgroup_id_x 1
		.amdhsa_system_sgpr_workgroup_id_y 0
		.amdhsa_system_sgpr_workgroup_id_z 0
		.amdhsa_system_sgpr_workgroup_info 0
		.amdhsa_system_vgpr_workitem_id 0
		.amdhsa_next_free_vgpr 11
		.amdhsa_next_free_sgpr 12
		.amdhsa_named_barrier_count 0
		.amdhsa_reserve_vcc 1
		.amdhsa_float_round_mode_32 0
		.amdhsa_float_round_mode_16_64 0
		.amdhsa_float_denorm_mode_32 3
		.amdhsa_float_denorm_mode_16_64 3
		.amdhsa_fp16_overflow 0
		.amdhsa_memory_ordered 1
		.amdhsa_forward_progress 1
		.amdhsa_inst_pref_size 2
		.amdhsa_round_robin_scheduling 0
		.amdhsa_exception_fp_ieee_invalid_op 0
		.amdhsa_exception_fp_denorm_src 0
		.amdhsa_exception_fp_ieee_div_zero 0
		.amdhsa_exception_fp_ieee_overflow 0
		.amdhsa_exception_fp_ieee_underflow 0
		.amdhsa_exception_fp_ieee_inexact 0
		.amdhsa_exception_int_div_zero 0
	.end_amdhsa_kernel
	.section	.text._ZN9rocsparseL22csr2csc_permute_kernelILj512ElliEEvT0_PKT1_PKT2_PKS1_PS2_PS5_,"axG",@progbits,_ZN9rocsparseL22csr2csc_permute_kernelILj512ElliEEvT0_PKT1_PKT2_PKS1_PS2_PS5_,comdat
.Lfunc_end15:
	.size	_ZN9rocsparseL22csr2csc_permute_kernelILj512ElliEEvT0_PKT1_PKT2_PKS1_PS2_PS5_, .Lfunc_end15-_ZN9rocsparseL22csr2csc_permute_kernelILj512ElliEEvT0_PKT1_PKT2_PKS1_PS2_PS5_
                                        ; -- End function
	.set _ZN9rocsparseL22csr2csc_permute_kernelILj512ElliEEvT0_PKT1_PKT2_PKS1_PS2_PS5_.num_vgpr, 11
	.set _ZN9rocsparseL22csr2csc_permute_kernelILj512ElliEEvT0_PKT1_PKT2_PKS1_PS2_PS5_.num_agpr, 0
	.set _ZN9rocsparseL22csr2csc_permute_kernelILj512ElliEEvT0_PKT1_PKT2_PKS1_PS2_PS5_.numbered_sgpr, 12
	.set _ZN9rocsparseL22csr2csc_permute_kernelILj512ElliEEvT0_PKT1_PKT2_PKS1_PS2_PS5_.num_named_barrier, 0
	.set _ZN9rocsparseL22csr2csc_permute_kernelILj512ElliEEvT0_PKT1_PKT2_PKS1_PS2_PS5_.private_seg_size, 0
	.set _ZN9rocsparseL22csr2csc_permute_kernelILj512ElliEEvT0_PKT1_PKT2_PKS1_PS2_PS5_.uses_vcc, 1
	.set _ZN9rocsparseL22csr2csc_permute_kernelILj512ElliEEvT0_PKT1_PKT2_PKS1_PS2_PS5_.uses_flat_scratch, 0
	.set _ZN9rocsparseL22csr2csc_permute_kernelILj512ElliEEvT0_PKT1_PKT2_PKS1_PS2_PS5_.has_dyn_sized_stack, 0
	.set _ZN9rocsparseL22csr2csc_permute_kernelILj512ElliEEvT0_PKT1_PKT2_PKS1_PS2_PS5_.has_recursion, 0
	.set _ZN9rocsparseL22csr2csc_permute_kernelILj512ElliEEvT0_PKT1_PKT2_PKS1_PS2_PS5_.has_indirect_call, 0
	.section	.AMDGPU.csdata,"",@progbits
; Kernel info:
; codeLenInByte = 220
; TotalNumSgprs: 14
; NumVgprs: 11
; ScratchSize: 0
; MemoryBound: 0
; FloatMode: 240
; IeeeMode: 1
; LDSByteSize: 0 bytes/workgroup (compile time only)
; SGPRBlocks: 0
; VGPRBlocks: 0
; NumSGPRsForWavesPerEU: 14
; NumVGPRsForWavesPerEU: 11
; NamedBarCnt: 0
; Occupancy: 16
; WaveLimiterHint : 1
; COMPUTE_PGM_RSRC2:SCRATCH_EN: 0
; COMPUTE_PGM_RSRC2:USER_SGPR: 2
; COMPUTE_PGM_RSRC2:TRAP_HANDLER: 0
; COMPUTE_PGM_RSRC2:TGID_X_EN: 1
; COMPUTE_PGM_RSRC2:TGID_Y_EN: 0
; COMPUTE_PGM_RSRC2:TGID_Z_EN: 0
; COMPUTE_PGM_RSRC2:TIDIG_COMP_CNT: 0
	.section	.text._ZN9rocsparseL22csr2csc_permute_kernelILj512EiilEEvT0_PKT1_PKT2_PKS1_PS2_PS5_,"axG",@progbits,_ZN9rocsparseL22csr2csc_permute_kernelILj512EiilEEvT0_PKT1_PKT2_PKS1_PS2_PS5_,comdat
	.globl	_ZN9rocsparseL22csr2csc_permute_kernelILj512EiilEEvT0_PKT1_PKT2_PKS1_PS2_PS5_ ; -- Begin function _ZN9rocsparseL22csr2csc_permute_kernelILj512EiilEEvT0_PKT1_PKT2_PKS1_PS2_PS5_
	.p2align	8
	.type	_ZN9rocsparseL22csr2csc_permute_kernelILj512EiilEEvT0_PKT1_PKT2_PKS1_PS2_PS5_,@function
_ZN9rocsparseL22csr2csc_permute_kernelILj512EiilEEvT0_PKT1_PKT2_PKS1_PS2_PS5_: ; @_ZN9rocsparseL22csr2csc_permute_kernelILj512EiilEEvT0_PKT1_PKT2_PKS1_PS2_PS5_
; %bb.0:
	s_load_b32 s2, s[0:1], 0x0
	s_bfe_u32 s3, ttmp6, 0x4000c
	s_and_b32 s4, ttmp6, 15
	s_add_co_i32 s3, s3, 1
	s_getreg_b32 s5, hwreg(HW_REG_IB_STS2, 6, 4)
	s_mul_i32 s3, ttmp9, s3
	s_delay_alu instid0(SALU_CYCLE_1) | instskip(SKIP_2) | instid1(SALU_CYCLE_1)
	s_add_co_i32 s4, s4, s3
	s_cmp_eq_u32 s5, 0
	s_cselect_b32 s3, ttmp9, s4
	v_lshl_or_b32 v0, s3, 9, v0
	s_wait_kmcnt 0x0
	s_delay_alu instid0(VALU_DEP_1)
	v_cmp_gt_i32_e32 vcc_lo, s2, v0
	s_and_saveexec_b32 s2, vcc_lo
	s_cbranch_execz .LBB16_2
; %bb.1:
	s_load_b256 s[4:11], s[0:1], 0x8
	s_wait_kmcnt 0x0
	global_load_b32 v1, v0, s[8:9] scale_offset
	s_load_b64 s[0:1], s[0:1], 0x28
	s_wait_loadcnt 0x0
	s_clause 0x1
	global_load_b32 v4, v1, s[4:5] scale_offset
	global_load_b64 v[2:3], v1, s[6:7] scale_offset
	s_wait_loadcnt 0x1
	global_store_b32 v0, v4, s[10:11] scale_offset
	s_wait_loadcnt 0x0
	s_wait_kmcnt 0x0
	global_store_b64 v0, v[2:3], s[0:1] scale_offset
.LBB16_2:
	s_endpgm
	.section	.rodata,"a",@progbits
	.p2align	6, 0x0
	.amdhsa_kernel _ZN9rocsparseL22csr2csc_permute_kernelILj512EiilEEvT0_PKT1_PKT2_PKS1_PS2_PS5_
		.amdhsa_group_segment_fixed_size 0
		.amdhsa_private_segment_fixed_size 0
		.amdhsa_kernarg_size 48
		.amdhsa_user_sgpr_count 2
		.amdhsa_user_sgpr_dispatch_ptr 0
		.amdhsa_user_sgpr_queue_ptr 0
		.amdhsa_user_sgpr_kernarg_segment_ptr 1
		.amdhsa_user_sgpr_dispatch_id 0
		.amdhsa_user_sgpr_kernarg_preload_length 0
		.amdhsa_user_sgpr_kernarg_preload_offset 0
		.amdhsa_user_sgpr_private_segment_size 0
		.amdhsa_wavefront_size32 1
		.amdhsa_uses_dynamic_stack 0
		.amdhsa_enable_private_segment 0
		.amdhsa_system_sgpr_workgroup_id_x 1
		.amdhsa_system_sgpr_workgroup_id_y 0
		.amdhsa_system_sgpr_workgroup_id_z 0
		.amdhsa_system_sgpr_workgroup_info 0
		.amdhsa_system_vgpr_workitem_id 0
		.amdhsa_next_free_vgpr 5
		.amdhsa_next_free_sgpr 12
		.amdhsa_named_barrier_count 0
		.amdhsa_reserve_vcc 1
		.amdhsa_float_round_mode_32 0
		.amdhsa_float_round_mode_16_64 0
		.amdhsa_float_denorm_mode_32 3
		.amdhsa_float_denorm_mode_16_64 3
		.amdhsa_fp16_overflow 0
		.amdhsa_memory_ordered 1
		.amdhsa_forward_progress 1
		.amdhsa_inst_pref_size 2
		.amdhsa_round_robin_scheduling 0
		.amdhsa_exception_fp_ieee_invalid_op 0
		.amdhsa_exception_fp_denorm_src 0
		.amdhsa_exception_fp_ieee_div_zero 0
		.amdhsa_exception_fp_ieee_overflow 0
		.amdhsa_exception_fp_ieee_underflow 0
		.amdhsa_exception_fp_ieee_inexact 0
		.amdhsa_exception_int_div_zero 0
	.end_amdhsa_kernel
	.section	.text._ZN9rocsparseL22csr2csc_permute_kernelILj512EiilEEvT0_PKT1_PKT2_PKS1_PS2_PS5_,"axG",@progbits,_ZN9rocsparseL22csr2csc_permute_kernelILj512EiilEEvT0_PKT1_PKT2_PKS1_PS2_PS5_,comdat
.Lfunc_end16:
	.size	_ZN9rocsparseL22csr2csc_permute_kernelILj512EiilEEvT0_PKT1_PKT2_PKS1_PS2_PS5_, .Lfunc_end16-_ZN9rocsparseL22csr2csc_permute_kernelILj512EiilEEvT0_PKT1_PKT2_PKS1_PS2_PS5_
                                        ; -- End function
	.set _ZN9rocsparseL22csr2csc_permute_kernelILj512EiilEEvT0_PKT1_PKT2_PKS1_PS2_PS5_.num_vgpr, 5
	.set _ZN9rocsparseL22csr2csc_permute_kernelILj512EiilEEvT0_PKT1_PKT2_PKS1_PS2_PS5_.num_agpr, 0
	.set _ZN9rocsparseL22csr2csc_permute_kernelILj512EiilEEvT0_PKT1_PKT2_PKS1_PS2_PS5_.numbered_sgpr, 12
	.set _ZN9rocsparseL22csr2csc_permute_kernelILj512EiilEEvT0_PKT1_PKT2_PKS1_PS2_PS5_.num_named_barrier, 0
	.set _ZN9rocsparseL22csr2csc_permute_kernelILj512EiilEEvT0_PKT1_PKT2_PKS1_PS2_PS5_.private_seg_size, 0
	.set _ZN9rocsparseL22csr2csc_permute_kernelILj512EiilEEvT0_PKT1_PKT2_PKS1_PS2_PS5_.uses_vcc, 1
	.set _ZN9rocsparseL22csr2csc_permute_kernelILj512EiilEEvT0_PKT1_PKT2_PKS1_PS2_PS5_.uses_flat_scratch, 0
	.set _ZN9rocsparseL22csr2csc_permute_kernelILj512EiilEEvT0_PKT1_PKT2_PKS1_PS2_PS5_.has_dyn_sized_stack, 0
	.set _ZN9rocsparseL22csr2csc_permute_kernelILj512EiilEEvT0_PKT1_PKT2_PKS1_PS2_PS5_.has_recursion, 0
	.set _ZN9rocsparseL22csr2csc_permute_kernelILj512EiilEEvT0_PKT1_PKT2_PKS1_PS2_PS5_.has_indirect_call, 0
	.section	.AMDGPU.csdata,"",@progbits
; Kernel info:
; codeLenInByte = 180
; TotalNumSgprs: 14
; NumVgprs: 5
; ScratchSize: 0
; MemoryBound: 0
; FloatMode: 240
; IeeeMode: 1
; LDSByteSize: 0 bytes/workgroup (compile time only)
; SGPRBlocks: 0
; VGPRBlocks: 0
; NumSGPRsForWavesPerEU: 14
; NumVGPRsForWavesPerEU: 5
; NamedBarCnt: 0
; Occupancy: 16
; WaveLimiterHint : 1
; COMPUTE_PGM_RSRC2:SCRATCH_EN: 0
; COMPUTE_PGM_RSRC2:USER_SGPR: 2
; COMPUTE_PGM_RSRC2:TRAP_HANDLER: 0
; COMPUTE_PGM_RSRC2:TGID_X_EN: 1
; COMPUTE_PGM_RSRC2:TGID_Y_EN: 0
; COMPUTE_PGM_RSRC2:TGID_Z_EN: 0
; COMPUTE_PGM_RSRC2:TIDIG_COMP_CNT: 0
	.section	.text._ZN9rocsparseL22csr2csc_permute_kernelILj512ElilEEvT0_PKT1_PKT2_PKS1_PS2_PS5_,"axG",@progbits,_ZN9rocsparseL22csr2csc_permute_kernelILj512ElilEEvT0_PKT1_PKT2_PKS1_PS2_PS5_,comdat
	.globl	_ZN9rocsparseL22csr2csc_permute_kernelILj512ElilEEvT0_PKT1_PKT2_PKS1_PS2_PS5_ ; -- Begin function _ZN9rocsparseL22csr2csc_permute_kernelILj512ElilEEvT0_PKT1_PKT2_PKS1_PS2_PS5_
	.p2align	8
	.type	_ZN9rocsparseL22csr2csc_permute_kernelILj512ElilEEvT0_PKT1_PKT2_PKS1_PS2_PS5_,@function
_ZN9rocsparseL22csr2csc_permute_kernelILj512ElilEEvT0_PKT1_PKT2_PKS1_PS2_PS5_: ; @_ZN9rocsparseL22csr2csc_permute_kernelILj512ElilEEvT0_PKT1_PKT2_PKS1_PS2_PS5_
; %bb.0:
	s_bfe_u32 s4, ttmp6, 0x4000c
	s_load_b64 s[2:3], s[0:1], 0x0
	s_add_co_i32 s4, s4, 1
	s_and_b32 s5, ttmp6, 15
	s_mul_i32 s4, ttmp9, s4
	s_getreg_b32 s6, hwreg(HW_REG_IB_STS2, 6, 4)
	s_add_co_i32 s5, s5, s4
	s_cmp_eq_u32 s6, 0
	s_cselect_b32 s4, ttmp9, s5
	s_delay_alu instid0(SALU_CYCLE_1) | instskip(NEXT) | instid1(VALU_DEP_1)
	v_lshl_or_b32 v0, s4, 9, v0
	v_ashrrev_i32_e32 v1, 31, v0
	s_wait_kmcnt 0x0
	s_delay_alu instid0(VALU_DEP_1)
	v_cmp_gt_i64_e32 vcc_lo, s[2:3], v[0:1]
	s_and_saveexec_b32 s2, vcc_lo
	s_cbranch_execz .LBB17_2
; %bb.1:
	s_load_b256 s[4:11], s[0:1], 0x8
	v_lshlrev_b64_e32 v[2:3], 3, v[0:1]
	s_wait_xcnt 0x0
	s_load_b64 s[0:1], s[0:1], 0x28
	s_wait_kmcnt 0x0
	s_delay_alu instid0(VALU_DEP_1)
	v_add_nc_u64_e32 v[4:5], s[8:9], v[2:3]
	v_lshl_add_u64 v[0:1], v[0:1], 2, s[10:11]
	v_add_nc_u64_e32 v[2:3], s[0:1], v[2:3]
	global_load_b64 v[4:5], v[4:5], off
	s_wait_loadcnt 0x0
	v_lshl_add_u64 v[6:7], v[4:5], 2, s[4:5]
	v_lshl_add_u64 v[4:5], v[4:5], 3, s[6:7]
	global_load_b32 v10, v[6:7], off
	global_load_b64 v[8:9], v[4:5], off
	s_wait_loadcnt 0x1
	global_store_b32 v[0:1], v10, off
	s_wait_loadcnt 0x0
	global_store_b64 v[2:3], v[8:9], off
.LBB17_2:
	s_endpgm
	.section	.rodata,"a",@progbits
	.p2align	6, 0x0
	.amdhsa_kernel _ZN9rocsparseL22csr2csc_permute_kernelILj512ElilEEvT0_PKT1_PKT2_PKS1_PS2_PS5_
		.amdhsa_group_segment_fixed_size 0
		.amdhsa_private_segment_fixed_size 0
		.amdhsa_kernarg_size 48
		.amdhsa_user_sgpr_count 2
		.amdhsa_user_sgpr_dispatch_ptr 0
		.amdhsa_user_sgpr_queue_ptr 0
		.amdhsa_user_sgpr_kernarg_segment_ptr 1
		.amdhsa_user_sgpr_dispatch_id 0
		.amdhsa_user_sgpr_kernarg_preload_length 0
		.amdhsa_user_sgpr_kernarg_preload_offset 0
		.amdhsa_user_sgpr_private_segment_size 0
		.amdhsa_wavefront_size32 1
		.amdhsa_uses_dynamic_stack 0
		.amdhsa_enable_private_segment 0
		.amdhsa_system_sgpr_workgroup_id_x 1
		.amdhsa_system_sgpr_workgroup_id_y 0
		.amdhsa_system_sgpr_workgroup_id_z 0
		.amdhsa_system_sgpr_workgroup_info 0
		.amdhsa_system_vgpr_workitem_id 0
		.amdhsa_next_free_vgpr 11
		.amdhsa_next_free_sgpr 12
		.amdhsa_named_barrier_count 0
		.amdhsa_reserve_vcc 1
		.amdhsa_float_round_mode_32 0
		.amdhsa_float_round_mode_16_64 0
		.amdhsa_float_denorm_mode_32 3
		.amdhsa_float_denorm_mode_16_64 3
		.amdhsa_fp16_overflow 0
		.amdhsa_memory_ordered 1
		.amdhsa_forward_progress 1
		.amdhsa_inst_pref_size 2
		.amdhsa_round_robin_scheduling 0
		.amdhsa_exception_fp_ieee_invalid_op 0
		.amdhsa_exception_fp_denorm_src 0
		.amdhsa_exception_fp_ieee_div_zero 0
		.amdhsa_exception_fp_ieee_overflow 0
		.amdhsa_exception_fp_ieee_underflow 0
		.amdhsa_exception_fp_ieee_inexact 0
		.amdhsa_exception_int_div_zero 0
	.end_amdhsa_kernel
	.section	.text._ZN9rocsparseL22csr2csc_permute_kernelILj512ElilEEvT0_PKT1_PKT2_PKS1_PS2_PS5_,"axG",@progbits,_ZN9rocsparseL22csr2csc_permute_kernelILj512ElilEEvT0_PKT1_PKT2_PKS1_PS2_PS5_,comdat
.Lfunc_end17:
	.size	_ZN9rocsparseL22csr2csc_permute_kernelILj512ElilEEvT0_PKT1_PKT2_PKS1_PS2_PS5_, .Lfunc_end17-_ZN9rocsparseL22csr2csc_permute_kernelILj512ElilEEvT0_PKT1_PKT2_PKS1_PS2_PS5_
                                        ; -- End function
	.set _ZN9rocsparseL22csr2csc_permute_kernelILj512ElilEEvT0_PKT1_PKT2_PKS1_PS2_PS5_.num_vgpr, 11
	.set _ZN9rocsparseL22csr2csc_permute_kernelILj512ElilEEvT0_PKT1_PKT2_PKS1_PS2_PS5_.num_agpr, 0
	.set _ZN9rocsparseL22csr2csc_permute_kernelILj512ElilEEvT0_PKT1_PKT2_PKS1_PS2_PS5_.numbered_sgpr, 12
	.set _ZN9rocsparseL22csr2csc_permute_kernelILj512ElilEEvT0_PKT1_PKT2_PKS1_PS2_PS5_.num_named_barrier, 0
	.set _ZN9rocsparseL22csr2csc_permute_kernelILj512ElilEEvT0_PKT1_PKT2_PKS1_PS2_PS5_.private_seg_size, 0
	.set _ZN9rocsparseL22csr2csc_permute_kernelILj512ElilEEvT0_PKT1_PKT2_PKS1_PS2_PS5_.uses_vcc, 1
	.set _ZN9rocsparseL22csr2csc_permute_kernelILj512ElilEEvT0_PKT1_PKT2_PKS1_PS2_PS5_.uses_flat_scratch, 0
	.set _ZN9rocsparseL22csr2csc_permute_kernelILj512ElilEEvT0_PKT1_PKT2_PKS1_PS2_PS5_.has_dyn_sized_stack, 0
	.set _ZN9rocsparseL22csr2csc_permute_kernelILj512ElilEEvT0_PKT1_PKT2_PKS1_PS2_PS5_.has_recursion, 0
	.set _ZN9rocsparseL22csr2csc_permute_kernelILj512ElilEEvT0_PKT1_PKT2_PKS1_PS2_PS5_.has_indirect_call, 0
	.section	.AMDGPU.csdata,"",@progbits
; Kernel info:
; codeLenInByte = 220
; TotalNumSgprs: 14
; NumVgprs: 11
; ScratchSize: 0
; MemoryBound: 0
; FloatMode: 240
; IeeeMode: 1
; LDSByteSize: 0 bytes/workgroup (compile time only)
; SGPRBlocks: 0
; VGPRBlocks: 0
; NumSGPRsForWavesPerEU: 14
; NumVGPRsForWavesPerEU: 11
; NamedBarCnt: 0
; Occupancy: 16
; WaveLimiterHint : 1
; COMPUTE_PGM_RSRC2:SCRATCH_EN: 0
; COMPUTE_PGM_RSRC2:USER_SGPR: 2
; COMPUTE_PGM_RSRC2:TRAP_HANDLER: 0
; COMPUTE_PGM_RSRC2:TGID_X_EN: 1
; COMPUTE_PGM_RSRC2:TGID_Y_EN: 0
; COMPUTE_PGM_RSRC2:TGID_Z_EN: 0
; COMPUTE_PGM_RSRC2:TIDIG_COMP_CNT: 0
	.section	.text._ZN9rocsparseL22csr2csc_permute_kernelILj512EillEEvT0_PKT1_PKT2_PKS1_PS2_PS5_,"axG",@progbits,_ZN9rocsparseL22csr2csc_permute_kernelILj512EillEEvT0_PKT1_PKT2_PKS1_PS2_PS5_,comdat
	.globl	_ZN9rocsparseL22csr2csc_permute_kernelILj512EillEEvT0_PKT1_PKT2_PKS1_PS2_PS5_ ; -- Begin function _ZN9rocsparseL22csr2csc_permute_kernelILj512EillEEvT0_PKT1_PKT2_PKS1_PS2_PS5_
	.p2align	8
	.type	_ZN9rocsparseL22csr2csc_permute_kernelILj512EillEEvT0_PKT1_PKT2_PKS1_PS2_PS5_,@function
_ZN9rocsparseL22csr2csc_permute_kernelILj512EillEEvT0_PKT1_PKT2_PKS1_PS2_PS5_: ; @_ZN9rocsparseL22csr2csc_permute_kernelILj512EillEEvT0_PKT1_PKT2_PKS1_PS2_PS5_
; %bb.0:
	s_load_b32 s2, s[0:1], 0x0
	s_bfe_u32 s3, ttmp6, 0x4000c
	s_and_b32 s4, ttmp6, 15
	s_add_co_i32 s3, s3, 1
	s_getreg_b32 s5, hwreg(HW_REG_IB_STS2, 6, 4)
	s_mul_i32 s3, ttmp9, s3
	s_delay_alu instid0(SALU_CYCLE_1) | instskip(SKIP_2) | instid1(SALU_CYCLE_1)
	s_add_co_i32 s4, s4, s3
	s_cmp_eq_u32 s5, 0
	s_cselect_b32 s3, ttmp9, s4
	v_lshl_or_b32 v0, s3, 9, v0
	s_wait_kmcnt 0x0
	s_delay_alu instid0(VALU_DEP_1)
	v_cmp_gt_i32_e32 vcc_lo, s2, v0
	s_and_saveexec_b32 s2, vcc_lo
	s_cbranch_execz .LBB18_2
; %bb.1:
	s_load_b256 s[4:11], s[0:1], 0x8
	s_wait_kmcnt 0x0
	global_load_b32 v1, v0, s[8:9] scale_offset
	s_load_b64 s[0:1], s[0:1], 0x28
	s_wait_loadcnt 0x0
	s_clause 0x1
	global_load_b64 v[2:3], v1, s[4:5] scale_offset
	global_load_b64 v[4:5], v1, s[6:7] scale_offset
	s_wait_loadcnt 0x1
	global_store_b64 v0, v[2:3], s[10:11] scale_offset
	s_wait_loadcnt 0x0
	s_wait_kmcnt 0x0
	global_store_b64 v0, v[4:5], s[0:1] scale_offset
.LBB18_2:
	s_endpgm
	.section	.rodata,"a",@progbits
	.p2align	6, 0x0
	.amdhsa_kernel _ZN9rocsparseL22csr2csc_permute_kernelILj512EillEEvT0_PKT1_PKT2_PKS1_PS2_PS5_
		.amdhsa_group_segment_fixed_size 0
		.amdhsa_private_segment_fixed_size 0
		.amdhsa_kernarg_size 48
		.amdhsa_user_sgpr_count 2
		.amdhsa_user_sgpr_dispatch_ptr 0
		.amdhsa_user_sgpr_queue_ptr 0
		.amdhsa_user_sgpr_kernarg_segment_ptr 1
		.amdhsa_user_sgpr_dispatch_id 0
		.amdhsa_user_sgpr_kernarg_preload_length 0
		.amdhsa_user_sgpr_kernarg_preload_offset 0
		.amdhsa_user_sgpr_private_segment_size 0
		.amdhsa_wavefront_size32 1
		.amdhsa_uses_dynamic_stack 0
		.amdhsa_enable_private_segment 0
		.amdhsa_system_sgpr_workgroup_id_x 1
		.amdhsa_system_sgpr_workgroup_id_y 0
		.amdhsa_system_sgpr_workgroup_id_z 0
		.amdhsa_system_sgpr_workgroup_info 0
		.amdhsa_system_vgpr_workitem_id 0
		.amdhsa_next_free_vgpr 6
		.amdhsa_next_free_sgpr 12
		.amdhsa_named_barrier_count 0
		.amdhsa_reserve_vcc 1
		.amdhsa_float_round_mode_32 0
		.amdhsa_float_round_mode_16_64 0
		.amdhsa_float_denorm_mode_32 3
		.amdhsa_float_denorm_mode_16_64 3
		.amdhsa_fp16_overflow 0
		.amdhsa_memory_ordered 1
		.amdhsa_forward_progress 1
		.amdhsa_inst_pref_size 2
		.amdhsa_round_robin_scheduling 0
		.amdhsa_exception_fp_ieee_invalid_op 0
		.amdhsa_exception_fp_denorm_src 0
		.amdhsa_exception_fp_ieee_div_zero 0
		.amdhsa_exception_fp_ieee_overflow 0
		.amdhsa_exception_fp_ieee_underflow 0
		.amdhsa_exception_fp_ieee_inexact 0
		.amdhsa_exception_int_div_zero 0
	.end_amdhsa_kernel
	.section	.text._ZN9rocsparseL22csr2csc_permute_kernelILj512EillEEvT0_PKT1_PKT2_PKS1_PS2_PS5_,"axG",@progbits,_ZN9rocsparseL22csr2csc_permute_kernelILj512EillEEvT0_PKT1_PKT2_PKS1_PS2_PS5_,comdat
.Lfunc_end18:
	.size	_ZN9rocsparseL22csr2csc_permute_kernelILj512EillEEvT0_PKT1_PKT2_PKS1_PS2_PS5_, .Lfunc_end18-_ZN9rocsparseL22csr2csc_permute_kernelILj512EillEEvT0_PKT1_PKT2_PKS1_PS2_PS5_
                                        ; -- End function
	.set _ZN9rocsparseL22csr2csc_permute_kernelILj512EillEEvT0_PKT1_PKT2_PKS1_PS2_PS5_.num_vgpr, 6
	.set _ZN9rocsparseL22csr2csc_permute_kernelILj512EillEEvT0_PKT1_PKT2_PKS1_PS2_PS5_.num_agpr, 0
	.set _ZN9rocsparseL22csr2csc_permute_kernelILj512EillEEvT0_PKT1_PKT2_PKS1_PS2_PS5_.numbered_sgpr, 12
	.set _ZN9rocsparseL22csr2csc_permute_kernelILj512EillEEvT0_PKT1_PKT2_PKS1_PS2_PS5_.num_named_barrier, 0
	.set _ZN9rocsparseL22csr2csc_permute_kernelILj512EillEEvT0_PKT1_PKT2_PKS1_PS2_PS5_.private_seg_size, 0
	.set _ZN9rocsparseL22csr2csc_permute_kernelILj512EillEEvT0_PKT1_PKT2_PKS1_PS2_PS5_.uses_vcc, 1
	.set _ZN9rocsparseL22csr2csc_permute_kernelILj512EillEEvT0_PKT1_PKT2_PKS1_PS2_PS5_.uses_flat_scratch, 0
	.set _ZN9rocsparseL22csr2csc_permute_kernelILj512EillEEvT0_PKT1_PKT2_PKS1_PS2_PS5_.has_dyn_sized_stack, 0
	.set _ZN9rocsparseL22csr2csc_permute_kernelILj512EillEEvT0_PKT1_PKT2_PKS1_PS2_PS5_.has_recursion, 0
	.set _ZN9rocsparseL22csr2csc_permute_kernelILj512EillEEvT0_PKT1_PKT2_PKS1_PS2_PS5_.has_indirect_call, 0
	.section	.AMDGPU.csdata,"",@progbits
; Kernel info:
; codeLenInByte = 180
; TotalNumSgprs: 14
; NumVgprs: 6
; ScratchSize: 0
; MemoryBound: 0
; FloatMode: 240
; IeeeMode: 1
; LDSByteSize: 0 bytes/workgroup (compile time only)
; SGPRBlocks: 0
; VGPRBlocks: 0
; NumSGPRsForWavesPerEU: 14
; NumVGPRsForWavesPerEU: 6
; NamedBarCnt: 0
; Occupancy: 16
; WaveLimiterHint : 1
; COMPUTE_PGM_RSRC2:SCRATCH_EN: 0
; COMPUTE_PGM_RSRC2:USER_SGPR: 2
; COMPUTE_PGM_RSRC2:TRAP_HANDLER: 0
; COMPUTE_PGM_RSRC2:TGID_X_EN: 1
; COMPUTE_PGM_RSRC2:TGID_Y_EN: 0
; COMPUTE_PGM_RSRC2:TGID_Z_EN: 0
; COMPUTE_PGM_RSRC2:TIDIG_COMP_CNT: 0
	.section	.text._ZN9rocsparseL22csr2csc_permute_kernelILj512ElllEEvT0_PKT1_PKT2_PKS1_PS2_PS5_,"axG",@progbits,_ZN9rocsparseL22csr2csc_permute_kernelILj512ElllEEvT0_PKT1_PKT2_PKS1_PS2_PS5_,comdat
	.globl	_ZN9rocsparseL22csr2csc_permute_kernelILj512ElllEEvT0_PKT1_PKT2_PKS1_PS2_PS5_ ; -- Begin function _ZN9rocsparseL22csr2csc_permute_kernelILj512ElllEEvT0_PKT1_PKT2_PKS1_PS2_PS5_
	.p2align	8
	.type	_ZN9rocsparseL22csr2csc_permute_kernelILj512ElllEEvT0_PKT1_PKT2_PKS1_PS2_PS5_,@function
_ZN9rocsparseL22csr2csc_permute_kernelILj512ElllEEvT0_PKT1_PKT2_PKS1_PS2_PS5_: ; @_ZN9rocsparseL22csr2csc_permute_kernelILj512ElllEEvT0_PKT1_PKT2_PKS1_PS2_PS5_
; %bb.0:
	s_bfe_u32 s4, ttmp6, 0x4000c
	s_load_b64 s[2:3], s[0:1], 0x0
	s_add_co_i32 s4, s4, 1
	s_and_b32 s5, ttmp6, 15
	s_mul_i32 s4, ttmp9, s4
	s_getreg_b32 s6, hwreg(HW_REG_IB_STS2, 6, 4)
	s_add_co_i32 s5, s5, s4
	s_cmp_eq_u32 s6, 0
	s_cselect_b32 s4, ttmp9, s5
	s_delay_alu instid0(SALU_CYCLE_1) | instskip(NEXT) | instid1(VALU_DEP_1)
	v_lshl_or_b32 v0, s4, 9, v0
	v_ashrrev_i32_e32 v1, 31, v0
	s_wait_kmcnt 0x0
	s_delay_alu instid0(VALU_DEP_1)
	v_cmp_gt_i64_e32 vcc_lo, s[2:3], v[0:1]
	s_and_saveexec_b32 s2, vcc_lo
	s_cbranch_execz .LBB19_2
; %bb.1:
	s_load_b256 s[4:11], s[0:1], 0x8
	v_lshlrev_b64_e32 v[0:1], 3, v[0:1]
	s_wait_xcnt 0x0
	s_load_b64 s[0:1], s[0:1], 0x28
	s_wait_kmcnt 0x0
	s_delay_alu instid0(VALU_DEP_1) | instskip(SKIP_3) | instid1(VALU_DEP_1)
	v_add_nc_u64_e32 v[2:3], s[8:9], v[0:1]
	global_load_b64 v[2:3], v[2:3], off
	s_wait_loadcnt 0x0
	v_lshlrev_b64_e32 v[2:3], 3, v[2:3]
	v_add_nc_u64_e32 v[4:5], s[4:5], v[2:3]
	v_add_nc_u64_e32 v[2:3], s[6:7], v[2:3]
	global_load_b64 v[6:7], v[4:5], off
	global_load_b64 v[8:9], v[2:3], off
	s_wait_xcnt 0x0
	v_add_nc_u64_e32 v[2:3], s[10:11], v[0:1]
	v_add_nc_u64_e32 v[0:1], s[0:1], v[0:1]
	s_wait_loadcnt 0x1
	global_store_b64 v[2:3], v[6:7], off
	s_wait_loadcnt 0x0
	global_store_b64 v[0:1], v[8:9], off
.LBB19_2:
	s_endpgm
	.section	.rodata,"a",@progbits
	.p2align	6, 0x0
	.amdhsa_kernel _ZN9rocsparseL22csr2csc_permute_kernelILj512ElllEEvT0_PKT1_PKT2_PKS1_PS2_PS5_
		.amdhsa_group_segment_fixed_size 0
		.amdhsa_private_segment_fixed_size 0
		.amdhsa_kernarg_size 48
		.amdhsa_user_sgpr_count 2
		.amdhsa_user_sgpr_dispatch_ptr 0
		.amdhsa_user_sgpr_queue_ptr 0
		.amdhsa_user_sgpr_kernarg_segment_ptr 1
		.amdhsa_user_sgpr_dispatch_id 0
		.amdhsa_user_sgpr_kernarg_preload_length 0
		.amdhsa_user_sgpr_kernarg_preload_offset 0
		.amdhsa_user_sgpr_private_segment_size 0
		.amdhsa_wavefront_size32 1
		.amdhsa_uses_dynamic_stack 0
		.amdhsa_enable_private_segment 0
		.amdhsa_system_sgpr_workgroup_id_x 1
		.amdhsa_system_sgpr_workgroup_id_y 0
		.amdhsa_system_sgpr_workgroup_id_z 0
		.amdhsa_system_sgpr_workgroup_info 0
		.amdhsa_system_vgpr_workitem_id 0
		.amdhsa_next_free_vgpr 10
		.amdhsa_next_free_sgpr 12
		.amdhsa_named_barrier_count 0
		.amdhsa_reserve_vcc 1
		.amdhsa_float_round_mode_32 0
		.amdhsa_float_round_mode_16_64 0
		.amdhsa_float_denorm_mode_32 3
		.amdhsa_float_denorm_mode_16_64 3
		.amdhsa_fp16_overflow 0
		.amdhsa_memory_ordered 1
		.amdhsa_forward_progress 1
		.amdhsa_inst_pref_size 2
		.amdhsa_round_robin_scheduling 0
		.amdhsa_exception_fp_ieee_invalid_op 0
		.amdhsa_exception_fp_denorm_src 0
		.amdhsa_exception_fp_ieee_div_zero 0
		.amdhsa_exception_fp_ieee_overflow 0
		.amdhsa_exception_fp_ieee_underflow 0
		.amdhsa_exception_fp_ieee_inexact 0
		.amdhsa_exception_int_div_zero 0
	.end_amdhsa_kernel
	.section	.text._ZN9rocsparseL22csr2csc_permute_kernelILj512ElllEEvT0_PKT1_PKT2_PKS1_PS2_PS5_,"axG",@progbits,_ZN9rocsparseL22csr2csc_permute_kernelILj512ElllEEvT0_PKT1_PKT2_PKS1_PS2_PS5_,comdat
.Lfunc_end19:
	.size	_ZN9rocsparseL22csr2csc_permute_kernelILj512ElllEEvT0_PKT1_PKT2_PKS1_PS2_PS5_, .Lfunc_end19-_ZN9rocsparseL22csr2csc_permute_kernelILj512ElllEEvT0_PKT1_PKT2_PKS1_PS2_PS5_
                                        ; -- End function
	.set _ZN9rocsparseL22csr2csc_permute_kernelILj512ElllEEvT0_PKT1_PKT2_PKS1_PS2_PS5_.num_vgpr, 10
	.set _ZN9rocsparseL22csr2csc_permute_kernelILj512ElllEEvT0_PKT1_PKT2_PKS1_PS2_PS5_.num_agpr, 0
	.set _ZN9rocsparseL22csr2csc_permute_kernelILj512ElllEEvT0_PKT1_PKT2_PKS1_PS2_PS5_.numbered_sgpr, 12
	.set _ZN9rocsparseL22csr2csc_permute_kernelILj512ElllEEvT0_PKT1_PKT2_PKS1_PS2_PS5_.num_named_barrier, 0
	.set _ZN9rocsparseL22csr2csc_permute_kernelILj512ElllEEvT0_PKT1_PKT2_PKS1_PS2_PS5_.private_seg_size, 0
	.set _ZN9rocsparseL22csr2csc_permute_kernelILj512ElllEEvT0_PKT1_PKT2_PKS1_PS2_PS5_.uses_vcc, 1
	.set _ZN9rocsparseL22csr2csc_permute_kernelILj512ElllEEvT0_PKT1_PKT2_PKS1_PS2_PS5_.uses_flat_scratch, 0
	.set _ZN9rocsparseL22csr2csc_permute_kernelILj512ElllEEvT0_PKT1_PKT2_PKS1_PS2_PS5_.has_dyn_sized_stack, 0
	.set _ZN9rocsparseL22csr2csc_permute_kernelILj512ElllEEvT0_PKT1_PKT2_PKS1_PS2_PS5_.has_recursion, 0
	.set _ZN9rocsparseL22csr2csc_permute_kernelILj512ElllEEvT0_PKT1_PKT2_PKS1_PS2_PS5_.has_indirect_call, 0
	.section	.AMDGPU.csdata,"",@progbits
; Kernel info:
; codeLenInByte = 216
; TotalNumSgprs: 14
; NumVgprs: 10
; ScratchSize: 0
; MemoryBound: 1
; FloatMode: 240
; IeeeMode: 1
; LDSByteSize: 0 bytes/workgroup (compile time only)
; SGPRBlocks: 0
; VGPRBlocks: 0
; NumSGPRsForWavesPerEU: 14
; NumVGPRsForWavesPerEU: 10
; NamedBarCnt: 0
; Occupancy: 16
; WaveLimiterHint : 1
; COMPUTE_PGM_RSRC2:SCRATCH_EN: 0
; COMPUTE_PGM_RSRC2:USER_SGPR: 2
; COMPUTE_PGM_RSRC2:TRAP_HANDLER: 0
; COMPUTE_PGM_RSRC2:TGID_X_EN: 1
; COMPUTE_PGM_RSRC2:TGID_Y_EN: 0
; COMPUTE_PGM_RSRC2:TGID_Z_EN: 0
; COMPUTE_PGM_RSRC2:TIDIG_COMP_CNT: 0
	.section	.text._ZN9rocsparseL22csr2csc_permute_kernelILj512EiifEEvT0_PKT1_PKT2_PKS1_PS2_PS5_,"axG",@progbits,_ZN9rocsparseL22csr2csc_permute_kernelILj512EiifEEvT0_PKT1_PKT2_PKS1_PS2_PS5_,comdat
	.globl	_ZN9rocsparseL22csr2csc_permute_kernelILj512EiifEEvT0_PKT1_PKT2_PKS1_PS2_PS5_ ; -- Begin function _ZN9rocsparseL22csr2csc_permute_kernelILj512EiifEEvT0_PKT1_PKT2_PKS1_PS2_PS5_
	.p2align	8
	.type	_ZN9rocsparseL22csr2csc_permute_kernelILj512EiifEEvT0_PKT1_PKT2_PKS1_PS2_PS5_,@function
_ZN9rocsparseL22csr2csc_permute_kernelILj512EiifEEvT0_PKT1_PKT2_PKS1_PS2_PS5_: ; @_ZN9rocsparseL22csr2csc_permute_kernelILj512EiifEEvT0_PKT1_PKT2_PKS1_PS2_PS5_
; %bb.0:
	s_load_b32 s2, s[0:1], 0x0
	s_bfe_u32 s3, ttmp6, 0x4000c
	s_and_b32 s4, ttmp6, 15
	s_add_co_i32 s3, s3, 1
	s_getreg_b32 s5, hwreg(HW_REG_IB_STS2, 6, 4)
	s_mul_i32 s3, ttmp9, s3
	s_delay_alu instid0(SALU_CYCLE_1) | instskip(SKIP_2) | instid1(SALU_CYCLE_1)
	s_add_co_i32 s4, s4, s3
	s_cmp_eq_u32 s5, 0
	s_cselect_b32 s3, ttmp9, s4
	v_lshl_or_b32 v0, s3, 9, v0
	s_wait_kmcnt 0x0
	s_delay_alu instid0(VALU_DEP_1)
	v_cmp_gt_i32_e32 vcc_lo, s2, v0
	s_and_saveexec_b32 s2, vcc_lo
	s_cbranch_execz .LBB20_2
; %bb.1:
	s_load_b256 s[4:11], s[0:1], 0x8
	s_wait_kmcnt 0x0
	global_load_b32 v1, v0, s[8:9] scale_offset
	s_load_b64 s[0:1], s[0:1], 0x28
	s_wait_loadcnt 0x0
	s_clause 0x1
	global_load_b32 v2, v1, s[4:5] scale_offset
	global_load_b32 v3, v1, s[6:7] scale_offset
	s_wait_loadcnt 0x1
	global_store_b32 v0, v2, s[10:11] scale_offset
	s_wait_loadcnt 0x0
	s_wait_kmcnt 0x0
	global_store_b32 v0, v3, s[0:1] scale_offset
.LBB20_2:
	s_endpgm
	.section	.rodata,"a",@progbits
	.p2align	6, 0x0
	.amdhsa_kernel _ZN9rocsparseL22csr2csc_permute_kernelILj512EiifEEvT0_PKT1_PKT2_PKS1_PS2_PS5_
		.amdhsa_group_segment_fixed_size 0
		.amdhsa_private_segment_fixed_size 0
		.amdhsa_kernarg_size 48
		.amdhsa_user_sgpr_count 2
		.amdhsa_user_sgpr_dispatch_ptr 0
		.amdhsa_user_sgpr_queue_ptr 0
		.amdhsa_user_sgpr_kernarg_segment_ptr 1
		.amdhsa_user_sgpr_dispatch_id 0
		.amdhsa_user_sgpr_kernarg_preload_length 0
		.amdhsa_user_sgpr_kernarg_preload_offset 0
		.amdhsa_user_sgpr_private_segment_size 0
		.amdhsa_wavefront_size32 1
		.amdhsa_uses_dynamic_stack 0
		.amdhsa_enable_private_segment 0
		.amdhsa_system_sgpr_workgroup_id_x 1
		.amdhsa_system_sgpr_workgroup_id_y 0
		.amdhsa_system_sgpr_workgroup_id_z 0
		.amdhsa_system_sgpr_workgroup_info 0
		.amdhsa_system_vgpr_workitem_id 0
		.amdhsa_next_free_vgpr 4
		.amdhsa_next_free_sgpr 12
		.amdhsa_named_barrier_count 0
		.amdhsa_reserve_vcc 1
		.amdhsa_float_round_mode_32 0
		.amdhsa_float_round_mode_16_64 0
		.amdhsa_float_denorm_mode_32 3
		.amdhsa_float_denorm_mode_16_64 3
		.amdhsa_fp16_overflow 0
		.amdhsa_memory_ordered 1
		.amdhsa_forward_progress 1
		.amdhsa_inst_pref_size 2
		.amdhsa_round_robin_scheduling 0
		.amdhsa_exception_fp_ieee_invalid_op 0
		.amdhsa_exception_fp_denorm_src 0
		.amdhsa_exception_fp_ieee_div_zero 0
		.amdhsa_exception_fp_ieee_overflow 0
		.amdhsa_exception_fp_ieee_underflow 0
		.amdhsa_exception_fp_ieee_inexact 0
		.amdhsa_exception_int_div_zero 0
	.end_amdhsa_kernel
	.section	.text._ZN9rocsparseL22csr2csc_permute_kernelILj512EiifEEvT0_PKT1_PKT2_PKS1_PS2_PS5_,"axG",@progbits,_ZN9rocsparseL22csr2csc_permute_kernelILj512EiifEEvT0_PKT1_PKT2_PKS1_PS2_PS5_,comdat
.Lfunc_end20:
	.size	_ZN9rocsparseL22csr2csc_permute_kernelILj512EiifEEvT0_PKT1_PKT2_PKS1_PS2_PS5_, .Lfunc_end20-_ZN9rocsparseL22csr2csc_permute_kernelILj512EiifEEvT0_PKT1_PKT2_PKS1_PS2_PS5_
                                        ; -- End function
	.set _ZN9rocsparseL22csr2csc_permute_kernelILj512EiifEEvT0_PKT1_PKT2_PKS1_PS2_PS5_.num_vgpr, 4
	.set _ZN9rocsparseL22csr2csc_permute_kernelILj512EiifEEvT0_PKT1_PKT2_PKS1_PS2_PS5_.num_agpr, 0
	.set _ZN9rocsparseL22csr2csc_permute_kernelILj512EiifEEvT0_PKT1_PKT2_PKS1_PS2_PS5_.numbered_sgpr, 12
	.set _ZN9rocsparseL22csr2csc_permute_kernelILj512EiifEEvT0_PKT1_PKT2_PKS1_PS2_PS5_.num_named_barrier, 0
	.set _ZN9rocsparseL22csr2csc_permute_kernelILj512EiifEEvT0_PKT1_PKT2_PKS1_PS2_PS5_.private_seg_size, 0
	.set _ZN9rocsparseL22csr2csc_permute_kernelILj512EiifEEvT0_PKT1_PKT2_PKS1_PS2_PS5_.uses_vcc, 1
	.set _ZN9rocsparseL22csr2csc_permute_kernelILj512EiifEEvT0_PKT1_PKT2_PKS1_PS2_PS5_.uses_flat_scratch, 0
	.set _ZN9rocsparseL22csr2csc_permute_kernelILj512EiifEEvT0_PKT1_PKT2_PKS1_PS2_PS5_.has_dyn_sized_stack, 0
	.set _ZN9rocsparseL22csr2csc_permute_kernelILj512EiifEEvT0_PKT1_PKT2_PKS1_PS2_PS5_.has_recursion, 0
	.set _ZN9rocsparseL22csr2csc_permute_kernelILj512EiifEEvT0_PKT1_PKT2_PKS1_PS2_PS5_.has_indirect_call, 0
	.section	.AMDGPU.csdata,"",@progbits
; Kernel info:
; codeLenInByte = 180
; TotalNumSgprs: 14
; NumVgprs: 4
; ScratchSize: 0
; MemoryBound: 0
; FloatMode: 240
; IeeeMode: 1
; LDSByteSize: 0 bytes/workgroup (compile time only)
; SGPRBlocks: 0
; VGPRBlocks: 0
; NumSGPRsForWavesPerEU: 14
; NumVGPRsForWavesPerEU: 4
; NamedBarCnt: 0
; Occupancy: 16
; WaveLimiterHint : 1
; COMPUTE_PGM_RSRC2:SCRATCH_EN: 0
; COMPUTE_PGM_RSRC2:USER_SGPR: 2
; COMPUTE_PGM_RSRC2:TRAP_HANDLER: 0
; COMPUTE_PGM_RSRC2:TGID_X_EN: 1
; COMPUTE_PGM_RSRC2:TGID_Y_EN: 0
; COMPUTE_PGM_RSRC2:TGID_Z_EN: 0
; COMPUTE_PGM_RSRC2:TIDIG_COMP_CNT: 0
	.section	.text._ZN9rocsparseL22csr2csc_permute_kernelILj512ElifEEvT0_PKT1_PKT2_PKS1_PS2_PS5_,"axG",@progbits,_ZN9rocsparseL22csr2csc_permute_kernelILj512ElifEEvT0_PKT1_PKT2_PKS1_PS2_PS5_,comdat
	.globl	_ZN9rocsparseL22csr2csc_permute_kernelILj512ElifEEvT0_PKT1_PKT2_PKS1_PS2_PS5_ ; -- Begin function _ZN9rocsparseL22csr2csc_permute_kernelILj512ElifEEvT0_PKT1_PKT2_PKS1_PS2_PS5_
	.p2align	8
	.type	_ZN9rocsparseL22csr2csc_permute_kernelILj512ElifEEvT0_PKT1_PKT2_PKS1_PS2_PS5_,@function
_ZN9rocsparseL22csr2csc_permute_kernelILj512ElifEEvT0_PKT1_PKT2_PKS1_PS2_PS5_: ; @_ZN9rocsparseL22csr2csc_permute_kernelILj512ElifEEvT0_PKT1_PKT2_PKS1_PS2_PS5_
; %bb.0:
	s_bfe_u32 s4, ttmp6, 0x4000c
	s_load_b64 s[2:3], s[0:1], 0x0
	s_add_co_i32 s4, s4, 1
	s_and_b32 s5, ttmp6, 15
	s_mul_i32 s4, ttmp9, s4
	s_getreg_b32 s6, hwreg(HW_REG_IB_STS2, 6, 4)
	s_add_co_i32 s5, s5, s4
	s_cmp_eq_u32 s6, 0
	s_cselect_b32 s4, ttmp9, s5
	s_delay_alu instid0(SALU_CYCLE_1) | instskip(NEXT) | instid1(VALU_DEP_1)
	v_lshl_or_b32 v0, s4, 9, v0
	v_ashrrev_i32_e32 v1, 31, v0
	s_wait_kmcnt 0x0
	s_delay_alu instid0(VALU_DEP_1)
	v_cmp_gt_i64_e32 vcc_lo, s[2:3], v[0:1]
	s_and_saveexec_b32 s2, vcc_lo
	s_cbranch_execz .LBB21_2
; %bb.1:
	s_load_b256 s[4:11], s[0:1], 0x8
	s_wait_kmcnt 0x0
	v_lshl_add_u64 v[2:3], v[0:1], 3, s[8:9]
	s_load_b64 s[0:1], s[0:1], 0x28
	v_lshlrev_b64_e32 v[0:1], 2, v[0:1]
	global_load_b64 v[2:3], v[2:3], off
	s_wait_loadcnt 0x0
	v_lshlrev_b64_e32 v[2:3], 2, v[2:3]
	s_delay_alu instid0(VALU_DEP_1)
	v_add_nc_u64_e32 v[4:5], s[4:5], v[2:3]
	v_add_nc_u64_e32 v[2:3], s[6:7], v[2:3]
	global_load_b32 v6, v[4:5], off
	global_load_b32 v7, v[2:3], off
	s_wait_xcnt 0x0
	v_add_nc_u64_e32 v[2:3], s[10:11], v[0:1]
	s_wait_kmcnt 0x0
	v_add_nc_u64_e32 v[0:1], s[0:1], v[0:1]
	s_wait_loadcnt 0x1
	global_store_b32 v[2:3], v6, off
	s_wait_loadcnt 0x0
	global_store_b32 v[0:1], v7, off
.LBB21_2:
	s_endpgm
	.section	.rodata,"a",@progbits
	.p2align	6, 0x0
	.amdhsa_kernel _ZN9rocsparseL22csr2csc_permute_kernelILj512ElifEEvT0_PKT1_PKT2_PKS1_PS2_PS5_
		.amdhsa_group_segment_fixed_size 0
		.amdhsa_private_segment_fixed_size 0
		.amdhsa_kernarg_size 48
		.amdhsa_user_sgpr_count 2
		.amdhsa_user_sgpr_dispatch_ptr 0
		.amdhsa_user_sgpr_queue_ptr 0
		.amdhsa_user_sgpr_kernarg_segment_ptr 1
		.amdhsa_user_sgpr_dispatch_id 0
		.amdhsa_user_sgpr_kernarg_preload_length 0
		.amdhsa_user_sgpr_kernarg_preload_offset 0
		.amdhsa_user_sgpr_private_segment_size 0
		.amdhsa_wavefront_size32 1
		.amdhsa_uses_dynamic_stack 0
		.amdhsa_enable_private_segment 0
		.amdhsa_system_sgpr_workgroup_id_x 1
		.amdhsa_system_sgpr_workgroup_id_y 0
		.amdhsa_system_sgpr_workgroup_id_z 0
		.amdhsa_system_sgpr_workgroup_info 0
		.amdhsa_system_vgpr_workitem_id 0
		.amdhsa_next_free_vgpr 8
		.amdhsa_next_free_sgpr 12
		.amdhsa_named_barrier_count 0
		.amdhsa_reserve_vcc 1
		.amdhsa_float_round_mode_32 0
		.amdhsa_float_round_mode_16_64 0
		.amdhsa_float_denorm_mode_32 3
		.amdhsa_float_denorm_mode_16_64 3
		.amdhsa_fp16_overflow 0
		.amdhsa_memory_ordered 1
		.amdhsa_forward_progress 1
		.amdhsa_inst_pref_size 2
		.amdhsa_round_robin_scheduling 0
		.amdhsa_exception_fp_ieee_invalid_op 0
		.amdhsa_exception_fp_denorm_src 0
		.amdhsa_exception_fp_ieee_div_zero 0
		.amdhsa_exception_fp_ieee_overflow 0
		.amdhsa_exception_fp_ieee_underflow 0
		.amdhsa_exception_fp_ieee_inexact 0
		.amdhsa_exception_int_div_zero 0
	.end_amdhsa_kernel
	.section	.text._ZN9rocsparseL22csr2csc_permute_kernelILj512ElifEEvT0_PKT1_PKT2_PKS1_PS2_PS5_,"axG",@progbits,_ZN9rocsparseL22csr2csc_permute_kernelILj512ElifEEvT0_PKT1_PKT2_PKS1_PS2_PS5_,comdat
.Lfunc_end21:
	.size	_ZN9rocsparseL22csr2csc_permute_kernelILj512ElifEEvT0_PKT1_PKT2_PKS1_PS2_PS5_, .Lfunc_end21-_ZN9rocsparseL22csr2csc_permute_kernelILj512ElifEEvT0_PKT1_PKT2_PKS1_PS2_PS5_
                                        ; -- End function
	.set _ZN9rocsparseL22csr2csc_permute_kernelILj512ElifEEvT0_PKT1_PKT2_PKS1_PS2_PS5_.num_vgpr, 8
	.set _ZN9rocsparseL22csr2csc_permute_kernelILj512ElifEEvT0_PKT1_PKT2_PKS1_PS2_PS5_.num_agpr, 0
	.set _ZN9rocsparseL22csr2csc_permute_kernelILj512ElifEEvT0_PKT1_PKT2_PKS1_PS2_PS5_.numbered_sgpr, 12
	.set _ZN9rocsparseL22csr2csc_permute_kernelILj512ElifEEvT0_PKT1_PKT2_PKS1_PS2_PS5_.num_named_barrier, 0
	.set _ZN9rocsparseL22csr2csc_permute_kernelILj512ElifEEvT0_PKT1_PKT2_PKS1_PS2_PS5_.private_seg_size, 0
	.set _ZN9rocsparseL22csr2csc_permute_kernelILj512ElifEEvT0_PKT1_PKT2_PKS1_PS2_PS5_.uses_vcc, 1
	.set _ZN9rocsparseL22csr2csc_permute_kernelILj512ElifEEvT0_PKT1_PKT2_PKS1_PS2_PS5_.uses_flat_scratch, 0
	.set _ZN9rocsparseL22csr2csc_permute_kernelILj512ElifEEvT0_PKT1_PKT2_PKS1_PS2_PS5_.has_dyn_sized_stack, 0
	.set _ZN9rocsparseL22csr2csc_permute_kernelILj512ElifEEvT0_PKT1_PKT2_PKS1_PS2_PS5_.has_recursion, 0
	.set _ZN9rocsparseL22csr2csc_permute_kernelILj512ElifEEvT0_PKT1_PKT2_PKS1_PS2_PS5_.has_indirect_call, 0
	.section	.AMDGPU.csdata,"",@progbits
; Kernel info:
; codeLenInByte = 220
; TotalNumSgprs: 14
; NumVgprs: 8
; ScratchSize: 0
; MemoryBound: 0
; FloatMode: 240
; IeeeMode: 1
; LDSByteSize: 0 bytes/workgroup (compile time only)
; SGPRBlocks: 0
; VGPRBlocks: 0
; NumSGPRsForWavesPerEU: 14
; NumVGPRsForWavesPerEU: 8
; NamedBarCnt: 0
; Occupancy: 16
; WaveLimiterHint : 1
; COMPUTE_PGM_RSRC2:SCRATCH_EN: 0
; COMPUTE_PGM_RSRC2:USER_SGPR: 2
; COMPUTE_PGM_RSRC2:TRAP_HANDLER: 0
; COMPUTE_PGM_RSRC2:TGID_X_EN: 1
; COMPUTE_PGM_RSRC2:TGID_Y_EN: 0
; COMPUTE_PGM_RSRC2:TGID_Z_EN: 0
; COMPUTE_PGM_RSRC2:TIDIG_COMP_CNT: 0
	.section	.text._ZN9rocsparseL22csr2csc_permute_kernelILj512EilfEEvT0_PKT1_PKT2_PKS1_PS2_PS5_,"axG",@progbits,_ZN9rocsparseL22csr2csc_permute_kernelILj512EilfEEvT0_PKT1_PKT2_PKS1_PS2_PS5_,comdat
	.globl	_ZN9rocsparseL22csr2csc_permute_kernelILj512EilfEEvT0_PKT1_PKT2_PKS1_PS2_PS5_ ; -- Begin function _ZN9rocsparseL22csr2csc_permute_kernelILj512EilfEEvT0_PKT1_PKT2_PKS1_PS2_PS5_
	.p2align	8
	.type	_ZN9rocsparseL22csr2csc_permute_kernelILj512EilfEEvT0_PKT1_PKT2_PKS1_PS2_PS5_,@function
_ZN9rocsparseL22csr2csc_permute_kernelILj512EilfEEvT0_PKT1_PKT2_PKS1_PS2_PS5_: ; @_ZN9rocsparseL22csr2csc_permute_kernelILj512EilfEEvT0_PKT1_PKT2_PKS1_PS2_PS5_
; %bb.0:
	s_load_b32 s2, s[0:1], 0x0
	s_bfe_u32 s3, ttmp6, 0x4000c
	s_and_b32 s4, ttmp6, 15
	s_add_co_i32 s3, s3, 1
	s_getreg_b32 s5, hwreg(HW_REG_IB_STS2, 6, 4)
	s_mul_i32 s3, ttmp9, s3
	s_delay_alu instid0(SALU_CYCLE_1) | instskip(SKIP_2) | instid1(SALU_CYCLE_1)
	s_add_co_i32 s4, s4, s3
	s_cmp_eq_u32 s5, 0
	s_cselect_b32 s3, ttmp9, s4
	v_lshl_or_b32 v0, s3, 9, v0
	s_wait_kmcnt 0x0
	s_delay_alu instid0(VALU_DEP_1)
	v_cmp_gt_i32_e32 vcc_lo, s2, v0
	s_and_saveexec_b32 s2, vcc_lo
	s_cbranch_execz .LBB22_2
; %bb.1:
	s_load_b256 s[4:11], s[0:1], 0x8
	s_wait_kmcnt 0x0
	global_load_b32 v1, v0, s[8:9] scale_offset
	s_load_b64 s[0:1], s[0:1], 0x28
	s_wait_loadcnt 0x0
	s_clause 0x1
	global_load_b64 v[2:3], v1, s[4:5] scale_offset
	global_load_b32 v4, v1, s[6:7] scale_offset
	s_wait_loadcnt 0x1
	global_store_b64 v0, v[2:3], s[10:11] scale_offset
	s_wait_loadcnt 0x0
	s_wait_kmcnt 0x0
	global_store_b32 v0, v4, s[0:1] scale_offset
.LBB22_2:
	s_endpgm
	.section	.rodata,"a",@progbits
	.p2align	6, 0x0
	.amdhsa_kernel _ZN9rocsparseL22csr2csc_permute_kernelILj512EilfEEvT0_PKT1_PKT2_PKS1_PS2_PS5_
		.amdhsa_group_segment_fixed_size 0
		.amdhsa_private_segment_fixed_size 0
		.amdhsa_kernarg_size 48
		.amdhsa_user_sgpr_count 2
		.amdhsa_user_sgpr_dispatch_ptr 0
		.amdhsa_user_sgpr_queue_ptr 0
		.amdhsa_user_sgpr_kernarg_segment_ptr 1
		.amdhsa_user_sgpr_dispatch_id 0
		.amdhsa_user_sgpr_kernarg_preload_length 0
		.amdhsa_user_sgpr_kernarg_preload_offset 0
		.amdhsa_user_sgpr_private_segment_size 0
		.amdhsa_wavefront_size32 1
		.amdhsa_uses_dynamic_stack 0
		.amdhsa_enable_private_segment 0
		.amdhsa_system_sgpr_workgroup_id_x 1
		.amdhsa_system_sgpr_workgroup_id_y 0
		.amdhsa_system_sgpr_workgroup_id_z 0
		.amdhsa_system_sgpr_workgroup_info 0
		.amdhsa_system_vgpr_workitem_id 0
		.amdhsa_next_free_vgpr 5
		.amdhsa_next_free_sgpr 12
		.amdhsa_named_barrier_count 0
		.amdhsa_reserve_vcc 1
		.amdhsa_float_round_mode_32 0
		.amdhsa_float_round_mode_16_64 0
		.amdhsa_float_denorm_mode_32 3
		.amdhsa_float_denorm_mode_16_64 3
		.amdhsa_fp16_overflow 0
		.amdhsa_memory_ordered 1
		.amdhsa_forward_progress 1
		.amdhsa_inst_pref_size 2
		.amdhsa_round_robin_scheduling 0
		.amdhsa_exception_fp_ieee_invalid_op 0
		.amdhsa_exception_fp_denorm_src 0
		.amdhsa_exception_fp_ieee_div_zero 0
		.amdhsa_exception_fp_ieee_overflow 0
		.amdhsa_exception_fp_ieee_underflow 0
		.amdhsa_exception_fp_ieee_inexact 0
		.amdhsa_exception_int_div_zero 0
	.end_amdhsa_kernel
	.section	.text._ZN9rocsparseL22csr2csc_permute_kernelILj512EilfEEvT0_PKT1_PKT2_PKS1_PS2_PS5_,"axG",@progbits,_ZN9rocsparseL22csr2csc_permute_kernelILj512EilfEEvT0_PKT1_PKT2_PKS1_PS2_PS5_,comdat
.Lfunc_end22:
	.size	_ZN9rocsparseL22csr2csc_permute_kernelILj512EilfEEvT0_PKT1_PKT2_PKS1_PS2_PS5_, .Lfunc_end22-_ZN9rocsparseL22csr2csc_permute_kernelILj512EilfEEvT0_PKT1_PKT2_PKS1_PS2_PS5_
                                        ; -- End function
	.set _ZN9rocsparseL22csr2csc_permute_kernelILj512EilfEEvT0_PKT1_PKT2_PKS1_PS2_PS5_.num_vgpr, 5
	.set _ZN9rocsparseL22csr2csc_permute_kernelILj512EilfEEvT0_PKT1_PKT2_PKS1_PS2_PS5_.num_agpr, 0
	.set _ZN9rocsparseL22csr2csc_permute_kernelILj512EilfEEvT0_PKT1_PKT2_PKS1_PS2_PS5_.numbered_sgpr, 12
	.set _ZN9rocsparseL22csr2csc_permute_kernelILj512EilfEEvT0_PKT1_PKT2_PKS1_PS2_PS5_.num_named_barrier, 0
	.set _ZN9rocsparseL22csr2csc_permute_kernelILj512EilfEEvT0_PKT1_PKT2_PKS1_PS2_PS5_.private_seg_size, 0
	.set _ZN9rocsparseL22csr2csc_permute_kernelILj512EilfEEvT0_PKT1_PKT2_PKS1_PS2_PS5_.uses_vcc, 1
	.set _ZN9rocsparseL22csr2csc_permute_kernelILj512EilfEEvT0_PKT1_PKT2_PKS1_PS2_PS5_.uses_flat_scratch, 0
	.set _ZN9rocsparseL22csr2csc_permute_kernelILj512EilfEEvT0_PKT1_PKT2_PKS1_PS2_PS5_.has_dyn_sized_stack, 0
	.set _ZN9rocsparseL22csr2csc_permute_kernelILj512EilfEEvT0_PKT1_PKT2_PKS1_PS2_PS5_.has_recursion, 0
	.set _ZN9rocsparseL22csr2csc_permute_kernelILj512EilfEEvT0_PKT1_PKT2_PKS1_PS2_PS5_.has_indirect_call, 0
	.section	.AMDGPU.csdata,"",@progbits
; Kernel info:
; codeLenInByte = 180
; TotalNumSgprs: 14
; NumVgprs: 5
; ScratchSize: 0
; MemoryBound: 0
; FloatMode: 240
; IeeeMode: 1
; LDSByteSize: 0 bytes/workgroup (compile time only)
; SGPRBlocks: 0
; VGPRBlocks: 0
; NumSGPRsForWavesPerEU: 14
; NumVGPRsForWavesPerEU: 5
; NamedBarCnt: 0
; Occupancy: 16
; WaveLimiterHint : 1
; COMPUTE_PGM_RSRC2:SCRATCH_EN: 0
; COMPUTE_PGM_RSRC2:USER_SGPR: 2
; COMPUTE_PGM_RSRC2:TRAP_HANDLER: 0
; COMPUTE_PGM_RSRC2:TGID_X_EN: 1
; COMPUTE_PGM_RSRC2:TGID_Y_EN: 0
; COMPUTE_PGM_RSRC2:TGID_Z_EN: 0
; COMPUTE_PGM_RSRC2:TIDIG_COMP_CNT: 0
	.section	.text._ZN9rocsparseL22csr2csc_permute_kernelILj512EllfEEvT0_PKT1_PKT2_PKS1_PS2_PS5_,"axG",@progbits,_ZN9rocsparseL22csr2csc_permute_kernelILj512EllfEEvT0_PKT1_PKT2_PKS1_PS2_PS5_,comdat
	.globl	_ZN9rocsparseL22csr2csc_permute_kernelILj512EllfEEvT0_PKT1_PKT2_PKS1_PS2_PS5_ ; -- Begin function _ZN9rocsparseL22csr2csc_permute_kernelILj512EllfEEvT0_PKT1_PKT2_PKS1_PS2_PS5_
	.p2align	8
	.type	_ZN9rocsparseL22csr2csc_permute_kernelILj512EllfEEvT0_PKT1_PKT2_PKS1_PS2_PS5_,@function
_ZN9rocsparseL22csr2csc_permute_kernelILj512EllfEEvT0_PKT1_PKT2_PKS1_PS2_PS5_: ; @_ZN9rocsparseL22csr2csc_permute_kernelILj512EllfEEvT0_PKT1_PKT2_PKS1_PS2_PS5_
; %bb.0:
	s_bfe_u32 s4, ttmp6, 0x4000c
	s_load_b64 s[2:3], s[0:1], 0x0
	s_add_co_i32 s4, s4, 1
	s_and_b32 s5, ttmp6, 15
	s_mul_i32 s4, ttmp9, s4
	s_getreg_b32 s6, hwreg(HW_REG_IB_STS2, 6, 4)
	s_add_co_i32 s5, s5, s4
	s_cmp_eq_u32 s6, 0
	s_cselect_b32 s4, ttmp9, s5
	s_delay_alu instid0(SALU_CYCLE_1) | instskip(NEXT) | instid1(VALU_DEP_1)
	v_lshl_or_b32 v0, s4, 9, v0
	v_ashrrev_i32_e32 v1, 31, v0
	s_wait_kmcnt 0x0
	s_delay_alu instid0(VALU_DEP_1)
	v_cmp_gt_i64_e32 vcc_lo, s[2:3], v[0:1]
	s_and_saveexec_b32 s2, vcc_lo
	s_cbranch_execz .LBB23_2
; %bb.1:
	s_load_b256 s[4:11], s[0:1], 0x8
	v_lshlrev_b64_e32 v[2:3], 3, v[0:1]
	s_wait_xcnt 0x0
	s_load_b64 s[0:1], s[0:1], 0x28
	s_wait_kmcnt 0x0
	s_delay_alu instid0(VALU_DEP_1)
	v_add_nc_u64_e32 v[4:5], s[8:9], v[2:3]
	v_add_nc_u64_e32 v[2:3], s[10:11], v[2:3]
	v_lshl_add_u64 v[0:1], v[0:1], 2, s[0:1]
	global_load_b64 v[4:5], v[4:5], off
	s_wait_loadcnt 0x0
	v_lshl_add_u64 v[6:7], v[4:5], 3, s[4:5]
	v_lshl_add_u64 v[4:5], v[4:5], 2, s[6:7]
	global_load_b64 v[8:9], v[6:7], off
	global_load_b32 v10, v[4:5], off
	s_wait_loadcnt 0x1
	global_store_b64 v[2:3], v[8:9], off
	s_wait_loadcnt 0x0
	global_store_b32 v[0:1], v10, off
.LBB23_2:
	s_endpgm
	.section	.rodata,"a",@progbits
	.p2align	6, 0x0
	.amdhsa_kernel _ZN9rocsparseL22csr2csc_permute_kernelILj512EllfEEvT0_PKT1_PKT2_PKS1_PS2_PS5_
		.amdhsa_group_segment_fixed_size 0
		.amdhsa_private_segment_fixed_size 0
		.amdhsa_kernarg_size 48
		.amdhsa_user_sgpr_count 2
		.amdhsa_user_sgpr_dispatch_ptr 0
		.amdhsa_user_sgpr_queue_ptr 0
		.amdhsa_user_sgpr_kernarg_segment_ptr 1
		.amdhsa_user_sgpr_dispatch_id 0
		.amdhsa_user_sgpr_kernarg_preload_length 0
		.amdhsa_user_sgpr_kernarg_preload_offset 0
		.amdhsa_user_sgpr_private_segment_size 0
		.amdhsa_wavefront_size32 1
		.amdhsa_uses_dynamic_stack 0
		.amdhsa_enable_private_segment 0
		.amdhsa_system_sgpr_workgroup_id_x 1
		.amdhsa_system_sgpr_workgroup_id_y 0
		.amdhsa_system_sgpr_workgroup_id_z 0
		.amdhsa_system_sgpr_workgroup_info 0
		.amdhsa_system_vgpr_workitem_id 0
		.amdhsa_next_free_vgpr 11
		.amdhsa_next_free_sgpr 12
		.amdhsa_named_barrier_count 0
		.amdhsa_reserve_vcc 1
		.amdhsa_float_round_mode_32 0
		.amdhsa_float_round_mode_16_64 0
		.amdhsa_float_denorm_mode_32 3
		.amdhsa_float_denorm_mode_16_64 3
		.amdhsa_fp16_overflow 0
		.amdhsa_memory_ordered 1
		.amdhsa_forward_progress 1
		.amdhsa_inst_pref_size 2
		.amdhsa_round_robin_scheduling 0
		.amdhsa_exception_fp_ieee_invalid_op 0
		.amdhsa_exception_fp_denorm_src 0
		.amdhsa_exception_fp_ieee_div_zero 0
		.amdhsa_exception_fp_ieee_overflow 0
		.amdhsa_exception_fp_ieee_underflow 0
		.amdhsa_exception_fp_ieee_inexact 0
		.amdhsa_exception_int_div_zero 0
	.end_amdhsa_kernel
	.section	.text._ZN9rocsparseL22csr2csc_permute_kernelILj512EllfEEvT0_PKT1_PKT2_PKS1_PS2_PS5_,"axG",@progbits,_ZN9rocsparseL22csr2csc_permute_kernelILj512EllfEEvT0_PKT1_PKT2_PKS1_PS2_PS5_,comdat
.Lfunc_end23:
	.size	_ZN9rocsparseL22csr2csc_permute_kernelILj512EllfEEvT0_PKT1_PKT2_PKS1_PS2_PS5_, .Lfunc_end23-_ZN9rocsparseL22csr2csc_permute_kernelILj512EllfEEvT0_PKT1_PKT2_PKS1_PS2_PS5_
                                        ; -- End function
	.set _ZN9rocsparseL22csr2csc_permute_kernelILj512EllfEEvT0_PKT1_PKT2_PKS1_PS2_PS5_.num_vgpr, 11
	.set _ZN9rocsparseL22csr2csc_permute_kernelILj512EllfEEvT0_PKT1_PKT2_PKS1_PS2_PS5_.num_agpr, 0
	.set _ZN9rocsparseL22csr2csc_permute_kernelILj512EllfEEvT0_PKT1_PKT2_PKS1_PS2_PS5_.numbered_sgpr, 12
	.set _ZN9rocsparseL22csr2csc_permute_kernelILj512EllfEEvT0_PKT1_PKT2_PKS1_PS2_PS5_.num_named_barrier, 0
	.set _ZN9rocsparseL22csr2csc_permute_kernelILj512EllfEEvT0_PKT1_PKT2_PKS1_PS2_PS5_.private_seg_size, 0
	.set _ZN9rocsparseL22csr2csc_permute_kernelILj512EllfEEvT0_PKT1_PKT2_PKS1_PS2_PS5_.uses_vcc, 1
	.set _ZN9rocsparseL22csr2csc_permute_kernelILj512EllfEEvT0_PKT1_PKT2_PKS1_PS2_PS5_.uses_flat_scratch, 0
	.set _ZN9rocsparseL22csr2csc_permute_kernelILj512EllfEEvT0_PKT1_PKT2_PKS1_PS2_PS5_.has_dyn_sized_stack, 0
	.set _ZN9rocsparseL22csr2csc_permute_kernelILj512EllfEEvT0_PKT1_PKT2_PKS1_PS2_PS5_.has_recursion, 0
	.set _ZN9rocsparseL22csr2csc_permute_kernelILj512EllfEEvT0_PKT1_PKT2_PKS1_PS2_PS5_.has_indirect_call, 0
	.section	.AMDGPU.csdata,"",@progbits
; Kernel info:
; codeLenInByte = 220
; TotalNumSgprs: 14
; NumVgprs: 11
; ScratchSize: 0
; MemoryBound: 0
; FloatMode: 240
; IeeeMode: 1
; LDSByteSize: 0 bytes/workgroup (compile time only)
; SGPRBlocks: 0
; VGPRBlocks: 0
; NumSGPRsForWavesPerEU: 14
; NumVGPRsForWavesPerEU: 11
; NamedBarCnt: 0
; Occupancy: 16
; WaveLimiterHint : 1
; COMPUTE_PGM_RSRC2:SCRATCH_EN: 0
; COMPUTE_PGM_RSRC2:USER_SGPR: 2
; COMPUTE_PGM_RSRC2:TRAP_HANDLER: 0
; COMPUTE_PGM_RSRC2:TGID_X_EN: 1
; COMPUTE_PGM_RSRC2:TGID_Y_EN: 0
; COMPUTE_PGM_RSRC2:TGID_Z_EN: 0
; COMPUTE_PGM_RSRC2:TIDIG_COMP_CNT: 0
	.section	.text._ZN9rocsparseL22csr2csc_permute_kernelILj512EiidEEvT0_PKT1_PKT2_PKS1_PS2_PS5_,"axG",@progbits,_ZN9rocsparseL22csr2csc_permute_kernelILj512EiidEEvT0_PKT1_PKT2_PKS1_PS2_PS5_,comdat
	.globl	_ZN9rocsparseL22csr2csc_permute_kernelILj512EiidEEvT0_PKT1_PKT2_PKS1_PS2_PS5_ ; -- Begin function _ZN9rocsparseL22csr2csc_permute_kernelILj512EiidEEvT0_PKT1_PKT2_PKS1_PS2_PS5_
	.p2align	8
	.type	_ZN9rocsparseL22csr2csc_permute_kernelILj512EiidEEvT0_PKT1_PKT2_PKS1_PS2_PS5_,@function
_ZN9rocsparseL22csr2csc_permute_kernelILj512EiidEEvT0_PKT1_PKT2_PKS1_PS2_PS5_: ; @_ZN9rocsparseL22csr2csc_permute_kernelILj512EiidEEvT0_PKT1_PKT2_PKS1_PS2_PS5_
; %bb.0:
	s_load_b32 s2, s[0:1], 0x0
	s_bfe_u32 s3, ttmp6, 0x4000c
	s_and_b32 s4, ttmp6, 15
	s_add_co_i32 s3, s3, 1
	s_getreg_b32 s5, hwreg(HW_REG_IB_STS2, 6, 4)
	s_mul_i32 s3, ttmp9, s3
	s_delay_alu instid0(SALU_CYCLE_1) | instskip(SKIP_2) | instid1(SALU_CYCLE_1)
	s_add_co_i32 s4, s4, s3
	s_cmp_eq_u32 s5, 0
	s_cselect_b32 s3, ttmp9, s4
	v_lshl_or_b32 v0, s3, 9, v0
	s_wait_kmcnt 0x0
	s_delay_alu instid0(VALU_DEP_1)
	v_cmp_gt_i32_e32 vcc_lo, s2, v0
	s_and_saveexec_b32 s2, vcc_lo
	s_cbranch_execz .LBB24_2
; %bb.1:
	s_load_b256 s[4:11], s[0:1], 0x8
	s_wait_kmcnt 0x0
	global_load_b32 v1, v0, s[8:9] scale_offset
	s_load_b64 s[0:1], s[0:1], 0x28
	s_wait_loadcnt 0x0
	s_clause 0x1
	global_load_b32 v4, v1, s[4:5] scale_offset
	global_load_b64 v[2:3], v1, s[6:7] scale_offset
	s_wait_loadcnt 0x1
	global_store_b32 v0, v4, s[10:11] scale_offset
	s_wait_loadcnt 0x0
	s_wait_kmcnt 0x0
	global_store_b64 v0, v[2:3], s[0:1] scale_offset
.LBB24_2:
	s_endpgm
	.section	.rodata,"a",@progbits
	.p2align	6, 0x0
	.amdhsa_kernel _ZN9rocsparseL22csr2csc_permute_kernelILj512EiidEEvT0_PKT1_PKT2_PKS1_PS2_PS5_
		.amdhsa_group_segment_fixed_size 0
		.amdhsa_private_segment_fixed_size 0
		.amdhsa_kernarg_size 48
		.amdhsa_user_sgpr_count 2
		.amdhsa_user_sgpr_dispatch_ptr 0
		.amdhsa_user_sgpr_queue_ptr 0
		.amdhsa_user_sgpr_kernarg_segment_ptr 1
		.amdhsa_user_sgpr_dispatch_id 0
		.amdhsa_user_sgpr_kernarg_preload_length 0
		.amdhsa_user_sgpr_kernarg_preload_offset 0
		.amdhsa_user_sgpr_private_segment_size 0
		.amdhsa_wavefront_size32 1
		.amdhsa_uses_dynamic_stack 0
		.amdhsa_enable_private_segment 0
		.amdhsa_system_sgpr_workgroup_id_x 1
		.amdhsa_system_sgpr_workgroup_id_y 0
		.amdhsa_system_sgpr_workgroup_id_z 0
		.amdhsa_system_sgpr_workgroup_info 0
		.amdhsa_system_vgpr_workitem_id 0
		.amdhsa_next_free_vgpr 5
		.amdhsa_next_free_sgpr 12
		.amdhsa_named_barrier_count 0
		.amdhsa_reserve_vcc 1
		.amdhsa_float_round_mode_32 0
		.amdhsa_float_round_mode_16_64 0
		.amdhsa_float_denorm_mode_32 3
		.amdhsa_float_denorm_mode_16_64 3
		.amdhsa_fp16_overflow 0
		.amdhsa_memory_ordered 1
		.amdhsa_forward_progress 1
		.amdhsa_inst_pref_size 2
		.amdhsa_round_robin_scheduling 0
		.amdhsa_exception_fp_ieee_invalid_op 0
		.amdhsa_exception_fp_denorm_src 0
		.amdhsa_exception_fp_ieee_div_zero 0
		.amdhsa_exception_fp_ieee_overflow 0
		.amdhsa_exception_fp_ieee_underflow 0
		.amdhsa_exception_fp_ieee_inexact 0
		.amdhsa_exception_int_div_zero 0
	.end_amdhsa_kernel
	.section	.text._ZN9rocsparseL22csr2csc_permute_kernelILj512EiidEEvT0_PKT1_PKT2_PKS1_PS2_PS5_,"axG",@progbits,_ZN9rocsparseL22csr2csc_permute_kernelILj512EiidEEvT0_PKT1_PKT2_PKS1_PS2_PS5_,comdat
.Lfunc_end24:
	.size	_ZN9rocsparseL22csr2csc_permute_kernelILj512EiidEEvT0_PKT1_PKT2_PKS1_PS2_PS5_, .Lfunc_end24-_ZN9rocsparseL22csr2csc_permute_kernelILj512EiidEEvT0_PKT1_PKT2_PKS1_PS2_PS5_
                                        ; -- End function
	.set _ZN9rocsparseL22csr2csc_permute_kernelILj512EiidEEvT0_PKT1_PKT2_PKS1_PS2_PS5_.num_vgpr, 5
	.set _ZN9rocsparseL22csr2csc_permute_kernelILj512EiidEEvT0_PKT1_PKT2_PKS1_PS2_PS5_.num_agpr, 0
	.set _ZN9rocsparseL22csr2csc_permute_kernelILj512EiidEEvT0_PKT1_PKT2_PKS1_PS2_PS5_.numbered_sgpr, 12
	.set _ZN9rocsparseL22csr2csc_permute_kernelILj512EiidEEvT0_PKT1_PKT2_PKS1_PS2_PS5_.num_named_barrier, 0
	.set _ZN9rocsparseL22csr2csc_permute_kernelILj512EiidEEvT0_PKT1_PKT2_PKS1_PS2_PS5_.private_seg_size, 0
	.set _ZN9rocsparseL22csr2csc_permute_kernelILj512EiidEEvT0_PKT1_PKT2_PKS1_PS2_PS5_.uses_vcc, 1
	.set _ZN9rocsparseL22csr2csc_permute_kernelILj512EiidEEvT0_PKT1_PKT2_PKS1_PS2_PS5_.uses_flat_scratch, 0
	.set _ZN9rocsparseL22csr2csc_permute_kernelILj512EiidEEvT0_PKT1_PKT2_PKS1_PS2_PS5_.has_dyn_sized_stack, 0
	.set _ZN9rocsparseL22csr2csc_permute_kernelILj512EiidEEvT0_PKT1_PKT2_PKS1_PS2_PS5_.has_recursion, 0
	.set _ZN9rocsparseL22csr2csc_permute_kernelILj512EiidEEvT0_PKT1_PKT2_PKS1_PS2_PS5_.has_indirect_call, 0
	.section	.AMDGPU.csdata,"",@progbits
; Kernel info:
; codeLenInByte = 180
; TotalNumSgprs: 14
; NumVgprs: 5
; ScratchSize: 0
; MemoryBound: 0
; FloatMode: 240
; IeeeMode: 1
; LDSByteSize: 0 bytes/workgroup (compile time only)
; SGPRBlocks: 0
; VGPRBlocks: 0
; NumSGPRsForWavesPerEU: 14
; NumVGPRsForWavesPerEU: 5
; NamedBarCnt: 0
; Occupancy: 16
; WaveLimiterHint : 1
; COMPUTE_PGM_RSRC2:SCRATCH_EN: 0
; COMPUTE_PGM_RSRC2:USER_SGPR: 2
; COMPUTE_PGM_RSRC2:TRAP_HANDLER: 0
; COMPUTE_PGM_RSRC2:TGID_X_EN: 1
; COMPUTE_PGM_RSRC2:TGID_Y_EN: 0
; COMPUTE_PGM_RSRC2:TGID_Z_EN: 0
; COMPUTE_PGM_RSRC2:TIDIG_COMP_CNT: 0
	.section	.text._ZN9rocsparseL22csr2csc_permute_kernelILj512ElidEEvT0_PKT1_PKT2_PKS1_PS2_PS5_,"axG",@progbits,_ZN9rocsparseL22csr2csc_permute_kernelILj512ElidEEvT0_PKT1_PKT2_PKS1_PS2_PS5_,comdat
	.globl	_ZN9rocsparseL22csr2csc_permute_kernelILj512ElidEEvT0_PKT1_PKT2_PKS1_PS2_PS5_ ; -- Begin function _ZN9rocsparseL22csr2csc_permute_kernelILj512ElidEEvT0_PKT1_PKT2_PKS1_PS2_PS5_
	.p2align	8
	.type	_ZN9rocsparseL22csr2csc_permute_kernelILj512ElidEEvT0_PKT1_PKT2_PKS1_PS2_PS5_,@function
_ZN9rocsparseL22csr2csc_permute_kernelILj512ElidEEvT0_PKT1_PKT2_PKS1_PS2_PS5_: ; @_ZN9rocsparseL22csr2csc_permute_kernelILj512ElidEEvT0_PKT1_PKT2_PKS1_PS2_PS5_
; %bb.0:
	s_bfe_u32 s4, ttmp6, 0x4000c
	s_load_b64 s[2:3], s[0:1], 0x0
	s_add_co_i32 s4, s4, 1
	s_and_b32 s5, ttmp6, 15
	s_mul_i32 s4, ttmp9, s4
	s_getreg_b32 s6, hwreg(HW_REG_IB_STS2, 6, 4)
	s_add_co_i32 s5, s5, s4
	s_cmp_eq_u32 s6, 0
	s_cselect_b32 s4, ttmp9, s5
	s_delay_alu instid0(SALU_CYCLE_1) | instskip(NEXT) | instid1(VALU_DEP_1)
	v_lshl_or_b32 v0, s4, 9, v0
	v_ashrrev_i32_e32 v1, 31, v0
	s_wait_kmcnt 0x0
	s_delay_alu instid0(VALU_DEP_1)
	v_cmp_gt_i64_e32 vcc_lo, s[2:3], v[0:1]
	s_and_saveexec_b32 s2, vcc_lo
	s_cbranch_execz .LBB25_2
; %bb.1:
	s_load_b256 s[4:11], s[0:1], 0x8
	v_lshlrev_b64_e32 v[2:3], 3, v[0:1]
	s_wait_xcnt 0x0
	s_load_b64 s[0:1], s[0:1], 0x28
	s_wait_kmcnt 0x0
	s_delay_alu instid0(VALU_DEP_1)
	v_add_nc_u64_e32 v[4:5], s[8:9], v[2:3]
	v_lshl_add_u64 v[0:1], v[0:1], 2, s[10:11]
	v_add_nc_u64_e32 v[2:3], s[0:1], v[2:3]
	global_load_b64 v[4:5], v[4:5], off
	s_wait_loadcnt 0x0
	v_lshl_add_u64 v[6:7], v[4:5], 2, s[4:5]
	v_lshl_add_u64 v[4:5], v[4:5], 3, s[6:7]
	global_load_b32 v10, v[6:7], off
	global_load_b64 v[8:9], v[4:5], off
	s_wait_loadcnt 0x1
	global_store_b32 v[0:1], v10, off
	s_wait_loadcnt 0x0
	global_store_b64 v[2:3], v[8:9], off
.LBB25_2:
	s_endpgm
	.section	.rodata,"a",@progbits
	.p2align	6, 0x0
	.amdhsa_kernel _ZN9rocsparseL22csr2csc_permute_kernelILj512ElidEEvT0_PKT1_PKT2_PKS1_PS2_PS5_
		.amdhsa_group_segment_fixed_size 0
		.amdhsa_private_segment_fixed_size 0
		.amdhsa_kernarg_size 48
		.amdhsa_user_sgpr_count 2
		.amdhsa_user_sgpr_dispatch_ptr 0
		.amdhsa_user_sgpr_queue_ptr 0
		.amdhsa_user_sgpr_kernarg_segment_ptr 1
		.amdhsa_user_sgpr_dispatch_id 0
		.amdhsa_user_sgpr_kernarg_preload_length 0
		.amdhsa_user_sgpr_kernarg_preload_offset 0
		.amdhsa_user_sgpr_private_segment_size 0
		.amdhsa_wavefront_size32 1
		.amdhsa_uses_dynamic_stack 0
		.amdhsa_enable_private_segment 0
		.amdhsa_system_sgpr_workgroup_id_x 1
		.amdhsa_system_sgpr_workgroup_id_y 0
		.amdhsa_system_sgpr_workgroup_id_z 0
		.amdhsa_system_sgpr_workgroup_info 0
		.amdhsa_system_vgpr_workitem_id 0
		.amdhsa_next_free_vgpr 11
		.amdhsa_next_free_sgpr 12
		.amdhsa_named_barrier_count 0
		.amdhsa_reserve_vcc 1
		.amdhsa_float_round_mode_32 0
		.amdhsa_float_round_mode_16_64 0
		.amdhsa_float_denorm_mode_32 3
		.amdhsa_float_denorm_mode_16_64 3
		.amdhsa_fp16_overflow 0
		.amdhsa_memory_ordered 1
		.amdhsa_forward_progress 1
		.amdhsa_inst_pref_size 2
		.amdhsa_round_robin_scheduling 0
		.amdhsa_exception_fp_ieee_invalid_op 0
		.amdhsa_exception_fp_denorm_src 0
		.amdhsa_exception_fp_ieee_div_zero 0
		.amdhsa_exception_fp_ieee_overflow 0
		.amdhsa_exception_fp_ieee_underflow 0
		.amdhsa_exception_fp_ieee_inexact 0
		.amdhsa_exception_int_div_zero 0
	.end_amdhsa_kernel
	.section	.text._ZN9rocsparseL22csr2csc_permute_kernelILj512ElidEEvT0_PKT1_PKT2_PKS1_PS2_PS5_,"axG",@progbits,_ZN9rocsparseL22csr2csc_permute_kernelILj512ElidEEvT0_PKT1_PKT2_PKS1_PS2_PS5_,comdat
.Lfunc_end25:
	.size	_ZN9rocsparseL22csr2csc_permute_kernelILj512ElidEEvT0_PKT1_PKT2_PKS1_PS2_PS5_, .Lfunc_end25-_ZN9rocsparseL22csr2csc_permute_kernelILj512ElidEEvT0_PKT1_PKT2_PKS1_PS2_PS5_
                                        ; -- End function
	.set _ZN9rocsparseL22csr2csc_permute_kernelILj512ElidEEvT0_PKT1_PKT2_PKS1_PS2_PS5_.num_vgpr, 11
	.set _ZN9rocsparseL22csr2csc_permute_kernelILj512ElidEEvT0_PKT1_PKT2_PKS1_PS2_PS5_.num_agpr, 0
	.set _ZN9rocsparseL22csr2csc_permute_kernelILj512ElidEEvT0_PKT1_PKT2_PKS1_PS2_PS5_.numbered_sgpr, 12
	.set _ZN9rocsparseL22csr2csc_permute_kernelILj512ElidEEvT0_PKT1_PKT2_PKS1_PS2_PS5_.num_named_barrier, 0
	.set _ZN9rocsparseL22csr2csc_permute_kernelILj512ElidEEvT0_PKT1_PKT2_PKS1_PS2_PS5_.private_seg_size, 0
	.set _ZN9rocsparseL22csr2csc_permute_kernelILj512ElidEEvT0_PKT1_PKT2_PKS1_PS2_PS5_.uses_vcc, 1
	.set _ZN9rocsparseL22csr2csc_permute_kernelILj512ElidEEvT0_PKT1_PKT2_PKS1_PS2_PS5_.uses_flat_scratch, 0
	.set _ZN9rocsparseL22csr2csc_permute_kernelILj512ElidEEvT0_PKT1_PKT2_PKS1_PS2_PS5_.has_dyn_sized_stack, 0
	.set _ZN9rocsparseL22csr2csc_permute_kernelILj512ElidEEvT0_PKT1_PKT2_PKS1_PS2_PS5_.has_recursion, 0
	.set _ZN9rocsparseL22csr2csc_permute_kernelILj512ElidEEvT0_PKT1_PKT2_PKS1_PS2_PS5_.has_indirect_call, 0
	.section	.AMDGPU.csdata,"",@progbits
; Kernel info:
; codeLenInByte = 220
; TotalNumSgprs: 14
; NumVgprs: 11
; ScratchSize: 0
; MemoryBound: 0
; FloatMode: 240
; IeeeMode: 1
; LDSByteSize: 0 bytes/workgroup (compile time only)
; SGPRBlocks: 0
; VGPRBlocks: 0
; NumSGPRsForWavesPerEU: 14
; NumVGPRsForWavesPerEU: 11
; NamedBarCnt: 0
; Occupancy: 16
; WaveLimiterHint : 1
; COMPUTE_PGM_RSRC2:SCRATCH_EN: 0
; COMPUTE_PGM_RSRC2:USER_SGPR: 2
; COMPUTE_PGM_RSRC2:TRAP_HANDLER: 0
; COMPUTE_PGM_RSRC2:TGID_X_EN: 1
; COMPUTE_PGM_RSRC2:TGID_Y_EN: 0
; COMPUTE_PGM_RSRC2:TGID_Z_EN: 0
; COMPUTE_PGM_RSRC2:TIDIG_COMP_CNT: 0
	.section	.text._ZN9rocsparseL22csr2csc_permute_kernelILj512EildEEvT0_PKT1_PKT2_PKS1_PS2_PS5_,"axG",@progbits,_ZN9rocsparseL22csr2csc_permute_kernelILj512EildEEvT0_PKT1_PKT2_PKS1_PS2_PS5_,comdat
	.globl	_ZN9rocsparseL22csr2csc_permute_kernelILj512EildEEvT0_PKT1_PKT2_PKS1_PS2_PS5_ ; -- Begin function _ZN9rocsparseL22csr2csc_permute_kernelILj512EildEEvT0_PKT1_PKT2_PKS1_PS2_PS5_
	.p2align	8
	.type	_ZN9rocsparseL22csr2csc_permute_kernelILj512EildEEvT0_PKT1_PKT2_PKS1_PS2_PS5_,@function
_ZN9rocsparseL22csr2csc_permute_kernelILj512EildEEvT0_PKT1_PKT2_PKS1_PS2_PS5_: ; @_ZN9rocsparseL22csr2csc_permute_kernelILj512EildEEvT0_PKT1_PKT2_PKS1_PS2_PS5_
; %bb.0:
	s_load_b32 s2, s[0:1], 0x0
	s_bfe_u32 s3, ttmp6, 0x4000c
	s_and_b32 s4, ttmp6, 15
	s_add_co_i32 s3, s3, 1
	s_getreg_b32 s5, hwreg(HW_REG_IB_STS2, 6, 4)
	s_mul_i32 s3, ttmp9, s3
	s_delay_alu instid0(SALU_CYCLE_1) | instskip(SKIP_2) | instid1(SALU_CYCLE_1)
	s_add_co_i32 s4, s4, s3
	s_cmp_eq_u32 s5, 0
	s_cselect_b32 s3, ttmp9, s4
	v_lshl_or_b32 v0, s3, 9, v0
	s_wait_kmcnt 0x0
	s_delay_alu instid0(VALU_DEP_1)
	v_cmp_gt_i32_e32 vcc_lo, s2, v0
	s_and_saveexec_b32 s2, vcc_lo
	s_cbranch_execz .LBB26_2
; %bb.1:
	s_load_b256 s[4:11], s[0:1], 0x8
	s_wait_kmcnt 0x0
	global_load_b32 v1, v0, s[8:9] scale_offset
	s_load_b64 s[0:1], s[0:1], 0x28
	s_wait_loadcnt 0x0
	s_clause 0x1
	global_load_b64 v[2:3], v1, s[4:5] scale_offset
	global_load_b64 v[4:5], v1, s[6:7] scale_offset
	s_wait_loadcnt 0x1
	global_store_b64 v0, v[2:3], s[10:11] scale_offset
	s_wait_loadcnt 0x0
	s_wait_kmcnt 0x0
	global_store_b64 v0, v[4:5], s[0:1] scale_offset
.LBB26_2:
	s_endpgm
	.section	.rodata,"a",@progbits
	.p2align	6, 0x0
	.amdhsa_kernel _ZN9rocsparseL22csr2csc_permute_kernelILj512EildEEvT0_PKT1_PKT2_PKS1_PS2_PS5_
		.amdhsa_group_segment_fixed_size 0
		.amdhsa_private_segment_fixed_size 0
		.amdhsa_kernarg_size 48
		.amdhsa_user_sgpr_count 2
		.amdhsa_user_sgpr_dispatch_ptr 0
		.amdhsa_user_sgpr_queue_ptr 0
		.amdhsa_user_sgpr_kernarg_segment_ptr 1
		.amdhsa_user_sgpr_dispatch_id 0
		.amdhsa_user_sgpr_kernarg_preload_length 0
		.amdhsa_user_sgpr_kernarg_preload_offset 0
		.amdhsa_user_sgpr_private_segment_size 0
		.amdhsa_wavefront_size32 1
		.amdhsa_uses_dynamic_stack 0
		.amdhsa_enable_private_segment 0
		.amdhsa_system_sgpr_workgroup_id_x 1
		.amdhsa_system_sgpr_workgroup_id_y 0
		.amdhsa_system_sgpr_workgroup_id_z 0
		.amdhsa_system_sgpr_workgroup_info 0
		.amdhsa_system_vgpr_workitem_id 0
		.amdhsa_next_free_vgpr 6
		.amdhsa_next_free_sgpr 12
		.amdhsa_named_barrier_count 0
		.amdhsa_reserve_vcc 1
		.amdhsa_float_round_mode_32 0
		.amdhsa_float_round_mode_16_64 0
		.amdhsa_float_denorm_mode_32 3
		.amdhsa_float_denorm_mode_16_64 3
		.amdhsa_fp16_overflow 0
		.amdhsa_memory_ordered 1
		.amdhsa_forward_progress 1
		.amdhsa_inst_pref_size 2
		.amdhsa_round_robin_scheduling 0
		.amdhsa_exception_fp_ieee_invalid_op 0
		.amdhsa_exception_fp_denorm_src 0
		.amdhsa_exception_fp_ieee_div_zero 0
		.amdhsa_exception_fp_ieee_overflow 0
		.amdhsa_exception_fp_ieee_underflow 0
		.amdhsa_exception_fp_ieee_inexact 0
		.amdhsa_exception_int_div_zero 0
	.end_amdhsa_kernel
	.section	.text._ZN9rocsparseL22csr2csc_permute_kernelILj512EildEEvT0_PKT1_PKT2_PKS1_PS2_PS5_,"axG",@progbits,_ZN9rocsparseL22csr2csc_permute_kernelILj512EildEEvT0_PKT1_PKT2_PKS1_PS2_PS5_,comdat
.Lfunc_end26:
	.size	_ZN9rocsparseL22csr2csc_permute_kernelILj512EildEEvT0_PKT1_PKT2_PKS1_PS2_PS5_, .Lfunc_end26-_ZN9rocsparseL22csr2csc_permute_kernelILj512EildEEvT0_PKT1_PKT2_PKS1_PS2_PS5_
                                        ; -- End function
	.set _ZN9rocsparseL22csr2csc_permute_kernelILj512EildEEvT0_PKT1_PKT2_PKS1_PS2_PS5_.num_vgpr, 6
	.set _ZN9rocsparseL22csr2csc_permute_kernelILj512EildEEvT0_PKT1_PKT2_PKS1_PS2_PS5_.num_agpr, 0
	.set _ZN9rocsparseL22csr2csc_permute_kernelILj512EildEEvT0_PKT1_PKT2_PKS1_PS2_PS5_.numbered_sgpr, 12
	.set _ZN9rocsparseL22csr2csc_permute_kernelILj512EildEEvT0_PKT1_PKT2_PKS1_PS2_PS5_.num_named_barrier, 0
	.set _ZN9rocsparseL22csr2csc_permute_kernelILj512EildEEvT0_PKT1_PKT2_PKS1_PS2_PS5_.private_seg_size, 0
	.set _ZN9rocsparseL22csr2csc_permute_kernelILj512EildEEvT0_PKT1_PKT2_PKS1_PS2_PS5_.uses_vcc, 1
	.set _ZN9rocsparseL22csr2csc_permute_kernelILj512EildEEvT0_PKT1_PKT2_PKS1_PS2_PS5_.uses_flat_scratch, 0
	.set _ZN9rocsparseL22csr2csc_permute_kernelILj512EildEEvT0_PKT1_PKT2_PKS1_PS2_PS5_.has_dyn_sized_stack, 0
	.set _ZN9rocsparseL22csr2csc_permute_kernelILj512EildEEvT0_PKT1_PKT2_PKS1_PS2_PS5_.has_recursion, 0
	.set _ZN9rocsparseL22csr2csc_permute_kernelILj512EildEEvT0_PKT1_PKT2_PKS1_PS2_PS5_.has_indirect_call, 0
	.section	.AMDGPU.csdata,"",@progbits
; Kernel info:
; codeLenInByte = 180
; TotalNumSgprs: 14
; NumVgprs: 6
; ScratchSize: 0
; MemoryBound: 0
; FloatMode: 240
; IeeeMode: 1
; LDSByteSize: 0 bytes/workgroup (compile time only)
; SGPRBlocks: 0
; VGPRBlocks: 0
; NumSGPRsForWavesPerEU: 14
; NumVGPRsForWavesPerEU: 6
; NamedBarCnt: 0
; Occupancy: 16
; WaveLimiterHint : 1
; COMPUTE_PGM_RSRC2:SCRATCH_EN: 0
; COMPUTE_PGM_RSRC2:USER_SGPR: 2
; COMPUTE_PGM_RSRC2:TRAP_HANDLER: 0
; COMPUTE_PGM_RSRC2:TGID_X_EN: 1
; COMPUTE_PGM_RSRC2:TGID_Y_EN: 0
; COMPUTE_PGM_RSRC2:TGID_Z_EN: 0
; COMPUTE_PGM_RSRC2:TIDIG_COMP_CNT: 0
	.section	.text._ZN9rocsparseL22csr2csc_permute_kernelILj512ElldEEvT0_PKT1_PKT2_PKS1_PS2_PS5_,"axG",@progbits,_ZN9rocsparseL22csr2csc_permute_kernelILj512ElldEEvT0_PKT1_PKT2_PKS1_PS2_PS5_,comdat
	.globl	_ZN9rocsparseL22csr2csc_permute_kernelILj512ElldEEvT0_PKT1_PKT2_PKS1_PS2_PS5_ ; -- Begin function _ZN9rocsparseL22csr2csc_permute_kernelILj512ElldEEvT0_PKT1_PKT2_PKS1_PS2_PS5_
	.p2align	8
	.type	_ZN9rocsparseL22csr2csc_permute_kernelILj512ElldEEvT0_PKT1_PKT2_PKS1_PS2_PS5_,@function
_ZN9rocsparseL22csr2csc_permute_kernelILj512ElldEEvT0_PKT1_PKT2_PKS1_PS2_PS5_: ; @_ZN9rocsparseL22csr2csc_permute_kernelILj512ElldEEvT0_PKT1_PKT2_PKS1_PS2_PS5_
; %bb.0:
	s_bfe_u32 s4, ttmp6, 0x4000c
	s_load_b64 s[2:3], s[0:1], 0x0
	s_add_co_i32 s4, s4, 1
	s_and_b32 s5, ttmp6, 15
	s_mul_i32 s4, ttmp9, s4
	s_getreg_b32 s6, hwreg(HW_REG_IB_STS2, 6, 4)
	s_add_co_i32 s5, s5, s4
	s_cmp_eq_u32 s6, 0
	s_cselect_b32 s4, ttmp9, s5
	s_delay_alu instid0(SALU_CYCLE_1) | instskip(NEXT) | instid1(VALU_DEP_1)
	v_lshl_or_b32 v0, s4, 9, v0
	v_ashrrev_i32_e32 v1, 31, v0
	s_wait_kmcnt 0x0
	s_delay_alu instid0(VALU_DEP_1)
	v_cmp_gt_i64_e32 vcc_lo, s[2:3], v[0:1]
	s_and_saveexec_b32 s2, vcc_lo
	s_cbranch_execz .LBB27_2
; %bb.1:
	s_load_b256 s[4:11], s[0:1], 0x8
	v_lshlrev_b64_e32 v[0:1], 3, v[0:1]
	s_wait_xcnt 0x0
	s_load_b64 s[0:1], s[0:1], 0x28
	s_wait_kmcnt 0x0
	s_delay_alu instid0(VALU_DEP_1) | instskip(SKIP_3) | instid1(VALU_DEP_1)
	v_add_nc_u64_e32 v[2:3], s[8:9], v[0:1]
	global_load_b64 v[2:3], v[2:3], off
	s_wait_loadcnt 0x0
	v_lshlrev_b64_e32 v[2:3], 3, v[2:3]
	v_add_nc_u64_e32 v[4:5], s[4:5], v[2:3]
	v_add_nc_u64_e32 v[2:3], s[6:7], v[2:3]
	global_load_b64 v[6:7], v[4:5], off
	global_load_b64 v[8:9], v[2:3], off
	s_wait_xcnt 0x0
	v_add_nc_u64_e32 v[2:3], s[10:11], v[0:1]
	v_add_nc_u64_e32 v[0:1], s[0:1], v[0:1]
	s_wait_loadcnt 0x1
	global_store_b64 v[2:3], v[6:7], off
	s_wait_loadcnt 0x0
	global_store_b64 v[0:1], v[8:9], off
.LBB27_2:
	s_endpgm
	.section	.rodata,"a",@progbits
	.p2align	6, 0x0
	.amdhsa_kernel _ZN9rocsparseL22csr2csc_permute_kernelILj512ElldEEvT0_PKT1_PKT2_PKS1_PS2_PS5_
		.amdhsa_group_segment_fixed_size 0
		.amdhsa_private_segment_fixed_size 0
		.amdhsa_kernarg_size 48
		.amdhsa_user_sgpr_count 2
		.amdhsa_user_sgpr_dispatch_ptr 0
		.amdhsa_user_sgpr_queue_ptr 0
		.amdhsa_user_sgpr_kernarg_segment_ptr 1
		.amdhsa_user_sgpr_dispatch_id 0
		.amdhsa_user_sgpr_kernarg_preload_length 0
		.amdhsa_user_sgpr_kernarg_preload_offset 0
		.amdhsa_user_sgpr_private_segment_size 0
		.amdhsa_wavefront_size32 1
		.amdhsa_uses_dynamic_stack 0
		.amdhsa_enable_private_segment 0
		.amdhsa_system_sgpr_workgroup_id_x 1
		.amdhsa_system_sgpr_workgroup_id_y 0
		.amdhsa_system_sgpr_workgroup_id_z 0
		.amdhsa_system_sgpr_workgroup_info 0
		.amdhsa_system_vgpr_workitem_id 0
		.amdhsa_next_free_vgpr 10
		.amdhsa_next_free_sgpr 12
		.amdhsa_named_barrier_count 0
		.amdhsa_reserve_vcc 1
		.amdhsa_float_round_mode_32 0
		.amdhsa_float_round_mode_16_64 0
		.amdhsa_float_denorm_mode_32 3
		.amdhsa_float_denorm_mode_16_64 3
		.amdhsa_fp16_overflow 0
		.amdhsa_memory_ordered 1
		.amdhsa_forward_progress 1
		.amdhsa_inst_pref_size 2
		.amdhsa_round_robin_scheduling 0
		.amdhsa_exception_fp_ieee_invalid_op 0
		.amdhsa_exception_fp_denorm_src 0
		.amdhsa_exception_fp_ieee_div_zero 0
		.amdhsa_exception_fp_ieee_overflow 0
		.amdhsa_exception_fp_ieee_underflow 0
		.amdhsa_exception_fp_ieee_inexact 0
		.amdhsa_exception_int_div_zero 0
	.end_amdhsa_kernel
	.section	.text._ZN9rocsparseL22csr2csc_permute_kernelILj512ElldEEvT0_PKT1_PKT2_PKS1_PS2_PS5_,"axG",@progbits,_ZN9rocsparseL22csr2csc_permute_kernelILj512ElldEEvT0_PKT1_PKT2_PKS1_PS2_PS5_,comdat
.Lfunc_end27:
	.size	_ZN9rocsparseL22csr2csc_permute_kernelILj512ElldEEvT0_PKT1_PKT2_PKS1_PS2_PS5_, .Lfunc_end27-_ZN9rocsparseL22csr2csc_permute_kernelILj512ElldEEvT0_PKT1_PKT2_PKS1_PS2_PS5_
                                        ; -- End function
	.set _ZN9rocsparseL22csr2csc_permute_kernelILj512ElldEEvT0_PKT1_PKT2_PKS1_PS2_PS5_.num_vgpr, 10
	.set _ZN9rocsparseL22csr2csc_permute_kernelILj512ElldEEvT0_PKT1_PKT2_PKS1_PS2_PS5_.num_agpr, 0
	.set _ZN9rocsparseL22csr2csc_permute_kernelILj512ElldEEvT0_PKT1_PKT2_PKS1_PS2_PS5_.numbered_sgpr, 12
	.set _ZN9rocsparseL22csr2csc_permute_kernelILj512ElldEEvT0_PKT1_PKT2_PKS1_PS2_PS5_.num_named_barrier, 0
	.set _ZN9rocsparseL22csr2csc_permute_kernelILj512ElldEEvT0_PKT1_PKT2_PKS1_PS2_PS5_.private_seg_size, 0
	.set _ZN9rocsparseL22csr2csc_permute_kernelILj512ElldEEvT0_PKT1_PKT2_PKS1_PS2_PS5_.uses_vcc, 1
	.set _ZN9rocsparseL22csr2csc_permute_kernelILj512ElldEEvT0_PKT1_PKT2_PKS1_PS2_PS5_.uses_flat_scratch, 0
	.set _ZN9rocsparseL22csr2csc_permute_kernelILj512ElldEEvT0_PKT1_PKT2_PKS1_PS2_PS5_.has_dyn_sized_stack, 0
	.set _ZN9rocsparseL22csr2csc_permute_kernelILj512ElldEEvT0_PKT1_PKT2_PKS1_PS2_PS5_.has_recursion, 0
	.set _ZN9rocsparseL22csr2csc_permute_kernelILj512ElldEEvT0_PKT1_PKT2_PKS1_PS2_PS5_.has_indirect_call, 0
	.section	.AMDGPU.csdata,"",@progbits
; Kernel info:
; codeLenInByte = 216
; TotalNumSgprs: 14
; NumVgprs: 10
; ScratchSize: 0
; MemoryBound: 1
; FloatMode: 240
; IeeeMode: 1
; LDSByteSize: 0 bytes/workgroup (compile time only)
; SGPRBlocks: 0
; VGPRBlocks: 0
; NumSGPRsForWavesPerEU: 14
; NumVGPRsForWavesPerEU: 10
; NamedBarCnt: 0
; Occupancy: 16
; WaveLimiterHint : 1
; COMPUTE_PGM_RSRC2:SCRATCH_EN: 0
; COMPUTE_PGM_RSRC2:USER_SGPR: 2
; COMPUTE_PGM_RSRC2:TRAP_HANDLER: 0
; COMPUTE_PGM_RSRC2:TGID_X_EN: 1
; COMPUTE_PGM_RSRC2:TGID_Y_EN: 0
; COMPUTE_PGM_RSRC2:TGID_Z_EN: 0
; COMPUTE_PGM_RSRC2:TIDIG_COMP_CNT: 0
	.section	.text._ZN9rocsparseL22csr2csc_permute_kernelILj512Eii21rocsparse_complex_numIfEEEvT0_PKT1_PKT2_PKS3_PS4_PS7_,"axG",@progbits,_ZN9rocsparseL22csr2csc_permute_kernelILj512Eii21rocsparse_complex_numIfEEEvT0_PKT1_PKT2_PKS3_PS4_PS7_,comdat
	.globl	_ZN9rocsparseL22csr2csc_permute_kernelILj512Eii21rocsparse_complex_numIfEEEvT0_PKT1_PKT2_PKS3_PS4_PS7_ ; -- Begin function _ZN9rocsparseL22csr2csc_permute_kernelILj512Eii21rocsparse_complex_numIfEEEvT0_PKT1_PKT2_PKS3_PS4_PS7_
	.p2align	8
	.type	_ZN9rocsparseL22csr2csc_permute_kernelILj512Eii21rocsparse_complex_numIfEEEvT0_PKT1_PKT2_PKS3_PS4_PS7_,@function
_ZN9rocsparseL22csr2csc_permute_kernelILj512Eii21rocsparse_complex_numIfEEEvT0_PKT1_PKT2_PKS3_PS4_PS7_: ; @_ZN9rocsparseL22csr2csc_permute_kernelILj512Eii21rocsparse_complex_numIfEEEvT0_PKT1_PKT2_PKS3_PS4_PS7_
; %bb.0:
	s_load_b32 s2, s[0:1], 0x0
	s_bfe_u32 s3, ttmp6, 0x4000c
	s_and_b32 s4, ttmp6, 15
	s_add_co_i32 s3, s3, 1
	s_getreg_b32 s5, hwreg(HW_REG_IB_STS2, 6, 4)
	s_mul_i32 s3, ttmp9, s3
	s_delay_alu instid0(SALU_CYCLE_1) | instskip(SKIP_2) | instid1(SALU_CYCLE_1)
	s_add_co_i32 s4, s4, s3
	s_cmp_eq_u32 s5, 0
	s_cselect_b32 s3, ttmp9, s4
	v_lshl_or_b32 v0, s3, 9, v0
	s_wait_kmcnt 0x0
	s_delay_alu instid0(VALU_DEP_1)
	v_cmp_gt_i32_e32 vcc_lo, s2, v0
	s_and_saveexec_b32 s2, vcc_lo
	s_cbranch_execz .LBB28_2
; %bb.1:
	s_load_b256 s[4:11], s[0:1], 0x8
	s_wait_kmcnt 0x0
	global_load_b32 v1, v0, s[8:9] scale_offset
	s_load_b64 s[0:1], s[0:1], 0x28
	s_wait_loadcnt 0x0
	s_clause 0x1
	global_load_b32 v4, v1, s[4:5] scale_offset
	global_load_b64 v[2:3], v1, s[6:7] scale_offset
	s_wait_loadcnt 0x1
	global_store_b32 v0, v4, s[10:11] scale_offset
	s_wait_loadcnt 0x0
	s_wait_kmcnt 0x0
	global_store_b64 v0, v[2:3], s[0:1] scale_offset
.LBB28_2:
	s_endpgm
	.section	.rodata,"a",@progbits
	.p2align	6, 0x0
	.amdhsa_kernel _ZN9rocsparseL22csr2csc_permute_kernelILj512Eii21rocsparse_complex_numIfEEEvT0_PKT1_PKT2_PKS3_PS4_PS7_
		.amdhsa_group_segment_fixed_size 0
		.amdhsa_private_segment_fixed_size 0
		.amdhsa_kernarg_size 48
		.amdhsa_user_sgpr_count 2
		.amdhsa_user_sgpr_dispatch_ptr 0
		.amdhsa_user_sgpr_queue_ptr 0
		.amdhsa_user_sgpr_kernarg_segment_ptr 1
		.amdhsa_user_sgpr_dispatch_id 0
		.amdhsa_user_sgpr_kernarg_preload_length 0
		.amdhsa_user_sgpr_kernarg_preload_offset 0
		.amdhsa_user_sgpr_private_segment_size 0
		.amdhsa_wavefront_size32 1
		.amdhsa_uses_dynamic_stack 0
		.amdhsa_enable_private_segment 0
		.amdhsa_system_sgpr_workgroup_id_x 1
		.amdhsa_system_sgpr_workgroup_id_y 0
		.amdhsa_system_sgpr_workgroup_id_z 0
		.amdhsa_system_sgpr_workgroup_info 0
		.amdhsa_system_vgpr_workitem_id 0
		.amdhsa_next_free_vgpr 5
		.amdhsa_next_free_sgpr 12
		.amdhsa_named_barrier_count 0
		.amdhsa_reserve_vcc 1
		.amdhsa_float_round_mode_32 0
		.amdhsa_float_round_mode_16_64 0
		.amdhsa_float_denorm_mode_32 3
		.amdhsa_float_denorm_mode_16_64 3
		.amdhsa_fp16_overflow 0
		.amdhsa_memory_ordered 1
		.amdhsa_forward_progress 1
		.amdhsa_inst_pref_size 2
		.amdhsa_round_robin_scheduling 0
		.amdhsa_exception_fp_ieee_invalid_op 0
		.amdhsa_exception_fp_denorm_src 0
		.amdhsa_exception_fp_ieee_div_zero 0
		.amdhsa_exception_fp_ieee_overflow 0
		.amdhsa_exception_fp_ieee_underflow 0
		.amdhsa_exception_fp_ieee_inexact 0
		.amdhsa_exception_int_div_zero 0
	.end_amdhsa_kernel
	.section	.text._ZN9rocsparseL22csr2csc_permute_kernelILj512Eii21rocsparse_complex_numIfEEEvT0_PKT1_PKT2_PKS3_PS4_PS7_,"axG",@progbits,_ZN9rocsparseL22csr2csc_permute_kernelILj512Eii21rocsparse_complex_numIfEEEvT0_PKT1_PKT2_PKS3_PS4_PS7_,comdat
.Lfunc_end28:
	.size	_ZN9rocsparseL22csr2csc_permute_kernelILj512Eii21rocsparse_complex_numIfEEEvT0_PKT1_PKT2_PKS3_PS4_PS7_, .Lfunc_end28-_ZN9rocsparseL22csr2csc_permute_kernelILj512Eii21rocsparse_complex_numIfEEEvT0_PKT1_PKT2_PKS3_PS4_PS7_
                                        ; -- End function
	.set _ZN9rocsparseL22csr2csc_permute_kernelILj512Eii21rocsparse_complex_numIfEEEvT0_PKT1_PKT2_PKS3_PS4_PS7_.num_vgpr, 5
	.set _ZN9rocsparseL22csr2csc_permute_kernelILj512Eii21rocsparse_complex_numIfEEEvT0_PKT1_PKT2_PKS3_PS4_PS7_.num_agpr, 0
	.set _ZN9rocsparseL22csr2csc_permute_kernelILj512Eii21rocsparse_complex_numIfEEEvT0_PKT1_PKT2_PKS3_PS4_PS7_.numbered_sgpr, 12
	.set _ZN9rocsparseL22csr2csc_permute_kernelILj512Eii21rocsparse_complex_numIfEEEvT0_PKT1_PKT2_PKS3_PS4_PS7_.num_named_barrier, 0
	.set _ZN9rocsparseL22csr2csc_permute_kernelILj512Eii21rocsparse_complex_numIfEEEvT0_PKT1_PKT2_PKS3_PS4_PS7_.private_seg_size, 0
	.set _ZN9rocsparseL22csr2csc_permute_kernelILj512Eii21rocsparse_complex_numIfEEEvT0_PKT1_PKT2_PKS3_PS4_PS7_.uses_vcc, 1
	.set _ZN9rocsparseL22csr2csc_permute_kernelILj512Eii21rocsparse_complex_numIfEEEvT0_PKT1_PKT2_PKS3_PS4_PS7_.uses_flat_scratch, 0
	.set _ZN9rocsparseL22csr2csc_permute_kernelILj512Eii21rocsparse_complex_numIfEEEvT0_PKT1_PKT2_PKS3_PS4_PS7_.has_dyn_sized_stack, 0
	.set _ZN9rocsparseL22csr2csc_permute_kernelILj512Eii21rocsparse_complex_numIfEEEvT0_PKT1_PKT2_PKS3_PS4_PS7_.has_recursion, 0
	.set _ZN9rocsparseL22csr2csc_permute_kernelILj512Eii21rocsparse_complex_numIfEEEvT0_PKT1_PKT2_PKS3_PS4_PS7_.has_indirect_call, 0
	.section	.AMDGPU.csdata,"",@progbits
; Kernel info:
; codeLenInByte = 180
; TotalNumSgprs: 14
; NumVgprs: 5
; ScratchSize: 0
; MemoryBound: 0
; FloatMode: 240
; IeeeMode: 1
; LDSByteSize: 0 bytes/workgroup (compile time only)
; SGPRBlocks: 0
; VGPRBlocks: 0
; NumSGPRsForWavesPerEU: 14
; NumVGPRsForWavesPerEU: 5
; NamedBarCnt: 0
; Occupancy: 16
; WaveLimiterHint : 1
; COMPUTE_PGM_RSRC2:SCRATCH_EN: 0
; COMPUTE_PGM_RSRC2:USER_SGPR: 2
; COMPUTE_PGM_RSRC2:TRAP_HANDLER: 0
; COMPUTE_PGM_RSRC2:TGID_X_EN: 1
; COMPUTE_PGM_RSRC2:TGID_Y_EN: 0
; COMPUTE_PGM_RSRC2:TGID_Z_EN: 0
; COMPUTE_PGM_RSRC2:TIDIG_COMP_CNT: 0
	.section	.text._ZN9rocsparseL22csr2csc_permute_kernelILj512Eli21rocsparse_complex_numIfEEEvT0_PKT1_PKT2_PKS3_PS4_PS7_,"axG",@progbits,_ZN9rocsparseL22csr2csc_permute_kernelILj512Eli21rocsparse_complex_numIfEEEvT0_PKT1_PKT2_PKS3_PS4_PS7_,comdat
	.globl	_ZN9rocsparseL22csr2csc_permute_kernelILj512Eli21rocsparse_complex_numIfEEEvT0_PKT1_PKT2_PKS3_PS4_PS7_ ; -- Begin function _ZN9rocsparseL22csr2csc_permute_kernelILj512Eli21rocsparse_complex_numIfEEEvT0_PKT1_PKT2_PKS3_PS4_PS7_
	.p2align	8
	.type	_ZN9rocsparseL22csr2csc_permute_kernelILj512Eli21rocsparse_complex_numIfEEEvT0_PKT1_PKT2_PKS3_PS4_PS7_,@function
_ZN9rocsparseL22csr2csc_permute_kernelILj512Eli21rocsparse_complex_numIfEEEvT0_PKT1_PKT2_PKS3_PS4_PS7_: ; @_ZN9rocsparseL22csr2csc_permute_kernelILj512Eli21rocsparse_complex_numIfEEEvT0_PKT1_PKT2_PKS3_PS4_PS7_
; %bb.0:
	s_bfe_u32 s4, ttmp6, 0x4000c
	s_load_b64 s[2:3], s[0:1], 0x0
	s_add_co_i32 s4, s4, 1
	s_and_b32 s5, ttmp6, 15
	s_mul_i32 s4, ttmp9, s4
	s_getreg_b32 s6, hwreg(HW_REG_IB_STS2, 6, 4)
	s_add_co_i32 s5, s5, s4
	s_cmp_eq_u32 s6, 0
	s_cselect_b32 s4, ttmp9, s5
	s_delay_alu instid0(SALU_CYCLE_1) | instskip(NEXT) | instid1(VALU_DEP_1)
	v_lshl_or_b32 v0, s4, 9, v0
	v_ashrrev_i32_e32 v1, 31, v0
	s_wait_kmcnt 0x0
	s_delay_alu instid0(VALU_DEP_1)
	v_cmp_gt_i64_e32 vcc_lo, s[2:3], v[0:1]
	s_and_saveexec_b32 s2, vcc_lo
	s_cbranch_execz .LBB29_2
; %bb.1:
	s_load_b256 s[4:11], s[0:1], 0x8
	v_lshlrev_b64_e32 v[2:3], 3, v[0:1]
	s_wait_xcnt 0x0
	s_load_b64 s[0:1], s[0:1], 0x28
	s_wait_kmcnt 0x0
	s_delay_alu instid0(VALU_DEP_1)
	v_add_nc_u64_e32 v[4:5], s[8:9], v[2:3]
	v_lshl_add_u64 v[0:1], v[0:1], 2, s[10:11]
	v_add_nc_u64_e32 v[2:3], s[0:1], v[2:3]
	global_load_b64 v[4:5], v[4:5], off
	s_wait_loadcnt 0x0
	v_lshl_add_u64 v[6:7], v[4:5], 2, s[4:5]
	v_lshl_add_u64 v[4:5], v[4:5], 3, s[6:7]
	global_load_b32 v10, v[6:7], off
	global_load_b64 v[8:9], v[4:5], off
	s_wait_loadcnt 0x1
	global_store_b32 v[0:1], v10, off
	s_wait_loadcnt 0x0
	global_store_b64 v[2:3], v[8:9], off
.LBB29_2:
	s_endpgm
	.section	.rodata,"a",@progbits
	.p2align	6, 0x0
	.amdhsa_kernel _ZN9rocsparseL22csr2csc_permute_kernelILj512Eli21rocsparse_complex_numIfEEEvT0_PKT1_PKT2_PKS3_PS4_PS7_
		.amdhsa_group_segment_fixed_size 0
		.amdhsa_private_segment_fixed_size 0
		.amdhsa_kernarg_size 48
		.amdhsa_user_sgpr_count 2
		.amdhsa_user_sgpr_dispatch_ptr 0
		.amdhsa_user_sgpr_queue_ptr 0
		.amdhsa_user_sgpr_kernarg_segment_ptr 1
		.amdhsa_user_sgpr_dispatch_id 0
		.amdhsa_user_sgpr_kernarg_preload_length 0
		.amdhsa_user_sgpr_kernarg_preload_offset 0
		.amdhsa_user_sgpr_private_segment_size 0
		.amdhsa_wavefront_size32 1
		.amdhsa_uses_dynamic_stack 0
		.amdhsa_enable_private_segment 0
		.amdhsa_system_sgpr_workgroup_id_x 1
		.amdhsa_system_sgpr_workgroup_id_y 0
		.amdhsa_system_sgpr_workgroup_id_z 0
		.amdhsa_system_sgpr_workgroup_info 0
		.amdhsa_system_vgpr_workitem_id 0
		.amdhsa_next_free_vgpr 11
		.amdhsa_next_free_sgpr 12
		.amdhsa_named_barrier_count 0
		.amdhsa_reserve_vcc 1
		.amdhsa_float_round_mode_32 0
		.amdhsa_float_round_mode_16_64 0
		.amdhsa_float_denorm_mode_32 3
		.amdhsa_float_denorm_mode_16_64 3
		.amdhsa_fp16_overflow 0
		.amdhsa_memory_ordered 1
		.amdhsa_forward_progress 1
		.amdhsa_inst_pref_size 2
		.amdhsa_round_robin_scheduling 0
		.amdhsa_exception_fp_ieee_invalid_op 0
		.amdhsa_exception_fp_denorm_src 0
		.amdhsa_exception_fp_ieee_div_zero 0
		.amdhsa_exception_fp_ieee_overflow 0
		.amdhsa_exception_fp_ieee_underflow 0
		.amdhsa_exception_fp_ieee_inexact 0
		.amdhsa_exception_int_div_zero 0
	.end_amdhsa_kernel
	.section	.text._ZN9rocsparseL22csr2csc_permute_kernelILj512Eli21rocsparse_complex_numIfEEEvT0_PKT1_PKT2_PKS3_PS4_PS7_,"axG",@progbits,_ZN9rocsparseL22csr2csc_permute_kernelILj512Eli21rocsparse_complex_numIfEEEvT0_PKT1_PKT2_PKS3_PS4_PS7_,comdat
.Lfunc_end29:
	.size	_ZN9rocsparseL22csr2csc_permute_kernelILj512Eli21rocsparse_complex_numIfEEEvT0_PKT1_PKT2_PKS3_PS4_PS7_, .Lfunc_end29-_ZN9rocsparseL22csr2csc_permute_kernelILj512Eli21rocsparse_complex_numIfEEEvT0_PKT1_PKT2_PKS3_PS4_PS7_
                                        ; -- End function
	.set _ZN9rocsparseL22csr2csc_permute_kernelILj512Eli21rocsparse_complex_numIfEEEvT0_PKT1_PKT2_PKS3_PS4_PS7_.num_vgpr, 11
	.set _ZN9rocsparseL22csr2csc_permute_kernelILj512Eli21rocsparse_complex_numIfEEEvT0_PKT1_PKT2_PKS3_PS4_PS7_.num_agpr, 0
	.set _ZN9rocsparseL22csr2csc_permute_kernelILj512Eli21rocsparse_complex_numIfEEEvT0_PKT1_PKT2_PKS3_PS4_PS7_.numbered_sgpr, 12
	.set _ZN9rocsparseL22csr2csc_permute_kernelILj512Eli21rocsparse_complex_numIfEEEvT0_PKT1_PKT2_PKS3_PS4_PS7_.num_named_barrier, 0
	.set _ZN9rocsparseL22csr2csc_permute_kernelILj512Eli21rocsparse_complex_numIfEEEvT0_PKT1_PKT2_PKS3_PS4_PS7_.private_seg_size, 0
	.set _ZN9rocsparseL22csr2csc_permute_kernelILj512Eli21rocsparse_complex_numIfEEEvT0_PKT1_PKT2_PKS3_PS4_PS7_.uses_vcc, 1
	.set _ZN9rocsparseL22csr2csc_permute_kernelILj512Eli21rocsparse_complex_numIfEEEvT0_PKT1_PKT2_PKS3_PS4_PS7_.uses_flat_scratch, 0
	.set _ZN9rocsparseL22csr2csc_permute_kernelILj512Eli21rocsparse_complex_numIfEEEvT0_PKT1_PKT2_PKS3_PS4_PS7_.has_dyn_sized_stack, 0
	.set _ZN9rocsparseL22csr2csc_permute_kernelILj512Eli21rocsparse_complex_numIfEEEvT0_PKT1_PKT2_PKS3_PS4_PS7_.has_recursion, 0
	.set _ZN9rocsparseL22csr2csc_permute_kernelILj512Eli21rocsparse_complex_numIfEEEvT0_PKT1_PKT2_PKS3_PS4_PS7_.has_indirect_call, 0
	.section	.AMDGPU.csdata,"",@progbits
; Kernel info:
; codeLenInByte = 220
; TotalNumSgprs: 14
; NumVgprs: 11
; ScratchSize: 0
; MemoryBound: 0
; FloatMode: 240
; IeeeMode: 1
; LDSByteSize: 0 bytes/workgroup (compile time only)
; SGPRBlocks: 0
; VGPRBlocks: 0
; NumSGPRsForWavesPerEU: 14
; NumVGPRsForWavesPerEU: 11
; NamedBarCnt: 0
; Occupancy: 16
; WaveLimiterHint : 1
; COMPUTE_PGM_RSRC2:SCRATCH_EN: 0
; COMPUTE_PGM_RSRC2:USER_SGPR: 2
; COMPUTE_PGM_RSRC2:TRAP_HANDLER: 0
; COMPUTE_PGM_RSRC2:TGID_X_EN: 1
; COMPUTE_PGM_RSRC2:TGID_Y_EN: 0
; COMPUTE_PGM_RSRC2:TGID_Z_EN: 0
; COMPUTE_PGM_RSRC2:TIDIG_COMP_CNT: 0
	.section	.text._ZN9rocsparseL22csr2csc_permute_kernelILj512Eil21rocsparse_complex_numIfEEEvT0_PKT1_PKT2_PKS3_PS4_PS7_,"axG",@progbits,_ZN9rocsparseL22csr2csc_permute_kernelILj512Eil21rocsparse_complex_numIfEEEvT0_PKT1_PKT2_PKS3_PS4_PS7_,comdat
	.globl	_ZN9rocsparseL22csr2csc_permute_kernelILj512Eil21rocsparse_complex_numIfEEEvT0_PKT1_PKT2_PKS3_PS4_PS7_ ; -- Begin function _ZN9rocsparseL22csr2csc_permute_kernelILj512Eil21rocsparse_complex_numIfEEEvT0_PKT1_PKT2_PKS3_PS4_PS7_
	.p2align	8
	.type	_ZN9rocsparseL22csr2csc_permute_kernelILj512Eil21rocsparse_complex_numIfEEEvT0_PKT1_PKT2_PKS3_PS4_PS7_,@function
_ZN9rocsparseL22csr2csc_permute_kernelILj512Eil21rocsparse_complex_numIfEEEvT0_PKT1_PKT2_PKS3_PS4_PS7_: ; @_ZN9rocsparseL22csr2csc_permute_kernelILj512Eil21rocsparse_complex_numIfEEEvT0_PKT1_PKT2_PKS3_PS4_PS7_
; %bb.0:
	s_load_b32 s2, s[0:1], 0x0
	s_bfe_u32 s3, ttmp6, 0x4000c
	s_and_b32 s4, ttmp6, 15
	s_add_co_i32 s3, s3, 1
	s_getreg_b32 s5, hwreg(HW_REG_IB_STS2, 6, 4)
	s_mul_i32 s3, ttmp9, s3
	s_delay_alu instid0(SALU_CYCLE_1) | instskip(SKIP_2) | instid1(SALU_CYCLE_1)
	s_add_co_i32 s4, s4, s3
	s_cmp_eq_u32 s5, 0
	s_cselect_b32 s3, ttmp9, s4
	v_lshl_or_b32 v0, s3, 9, v0
	s_wait_kmcnt 0x0
	s_delay_alu instid0(VALU_DEP_1)
	v_cmp_gt_i32_e32 vcc_lo, s2, v0
	s_and_saveexec_b32 s2, vcc_lo
	s_cbranch_execz .LBB30_2
; %bb.1:
	s_load_b256 s[4:11], s[0:1], 0x8
	s_wait_kmcnt 0x0
	global_load_b32 v1, v0, s[8:9] scale_offset
	s_load_b64 s[0:1], s[0:1], 0x28
	s_wait_loadcnt 0x0
	s_clause 0x1
	global_load_b64 v[2:3], v1, s[4:5] scale_offset
	global_load_b64 v[4:5], v1, s[6:7] scale_offset
	s_wait_loadcnt 0x1
	global_store_b64 v0, v[2:3], s[10:11] scale_offset
	s_wait_loadcnt 0x0
	s_wait_kmcnt 0x0
	global_store_b64 v0, v[4:5], s[0:1] scale_offset
.LBB30_2:
	s_endpgm
	.section	.rodata,"a",@progbits
	.p2align	6, 0x0
	.amdhsa_kernel _ZN9rocsparseL22csr2csc_permute_kernelILj512Eil21rocsparse_complex_numIfEEEvT0_PKT1_PKT2_PKS3_PS4_PS7_
		.amdhsa_group_segment_fixed_size 0
		.amdhsa_private_segment_fixed_size 0
		.amdhsa_kernarg_size 48
		.amdhsa_user_sgpr_count 2
		.amdhsa_user_sgpr_dispatch_ptr 0
		.amdhsa_user_sgpr_queue_ptr 0
		.amdhsa_user_sgpr_kernarg_segment_ptr 1
		.amdhsa_user_sgpr_dispatch_id 0
		.amdhsa_user_sgpr_kernarg_preload_length 0
		.amdhsa_user_sgpr_kernarg_preload_offset 0
		.amdhsa_user_sgpr_private_segment_size 0
		.amdhsa_wavefront_size32 1
		.amdhsa_uses_dynamic_stack 0
		.amdhsa_enable_private_segment 0
		.amdhsa_system_sgpr_workgroup_id_x 1
		.amdhsa_system_sgpr_workgroup_id_y 0
		.amdhsa_system_sgpr_workgroup_id_z 0
		.amdhsa_system_sgpr_workgroup_info 0
		.amdhsa_system_vgpr_workitem_id 0
		.amdhsa_next_free_vgpr 6
		.amdhsa_next_free_sgpr 12
		.amdhsa_named_barrier_count 0
		.amdhsa_reserve_vcc 1
		.amdhsa_float_round_mode_32 0
		.amdhsa_float_round_mode_16_64 0
		.amdhsa_float_denorm_mode_32 3
		.amdhsa_float_denorm_mode_16_64 3
		.amdhsa_fp16_overflow 0
		.amdhsa_memory_ordered 1
		.amdhsa_forward_progress 1
		.amdhsa_inst_pref_size 2
		.amdhsa_round_robin_scheduling 0
		.amdhsa_exception_fp_ieee_invalid_op 0
		.amdhsa_exception_fp_denorm_src 0
		.amdhsa_exception_fp_ieee_div_zero 0
		.amdhsa_exception_fp_ieee_overflow 0
		.amdhsa_exception_fp_ieee_underflow 0
		.amdhsa_exception_fp_ieee_inexact 0
		.amdhsa_exception_int_div_zero 0
	.end_amdhsa_kernel
	.section	.text._ZN9rocsparseL22csr2csc_permute_kernelILj512Eil21rocsparse_complex_numIfEEEvT0_PKT1_PKT2_PKS3_PS4_PS7_,"axG",@progbits,_ZN9rocsparseL22csr2csc_permute_kernelILj512Eil21rocsparse_complex_numIfEEEvT0_PKT1_PKT2_PKS3_PS4_PS7_,comdat
.Lfunc_end30:
	.size	_ZN9rocsparseL22csr2csc_permute_kernelILj512Eil21rocsparse_complex_numIfEEEvT0_PKT1_PKT2_PKS3_PS4_PS7_, .Lfunc_end30-_ZN9rocsparseL22csr2csc_permute_kernelILj512Eil21rocsparse_complex_numIfEEEvT0_PKT1_PKT2_PKS3_PS4_PS7_
                                        ; -- End function
	.set _ZN9rocsparseL22csr2csc_permute_kernelILj512Eil21rocsparse_complex_numIfEEEvT0_PKT1_PKT2_PKS3_PS4_PS7_.num_vgpr, 6
	.set _ZN9rocsparseL22csr2csc_permute_kernelILj512Eil21rocsparse_complex_numIfEEEvT0_PKT1_PKT2_PKS3_PS4_PS7_.num_agpr, 0
	.set _ZN9rocsparseL22csr2csc_permute_kernelILj512Eil21rocsparse_complex_numIfEEEvT0_PKT1_PKT2_PKS3_PS4_PS7_.numbered_sgpr, 12
	.set _ZN9rocsparseL22csr2csc_permute_kernelILj512Eil21rocsparse_complex_numIfEEEvT0_PKT1_PKT2_PKS3_PS4_PS7_.num_named_barrier, 0
	.set _ZN9rocsparseL22csr2csc_permute_kernelILj512Eil21rocsparse_complex_numIfEEEvT0_PKT1_PKT2_PKS3_PS4_PS7_.private_seg_size, 0
	.set _ZN9rocsparseL22csr2csc_permute_kernelILj512Eil21rocsparse_complex_numIfEEEvT0_PKT1_PKT2_PKS3_PS4_PS7_.uses_vcc, 1
	.set _ZN9rocsparseL22csr2csc_permute_kernelILj512Eil21rocsparse_complex_numIfEEEvT0_PKT1_PKT2_PKS3_PS4_PS7_.uses_flat_scratch, 0
	.set _ZN9rocsparseL22csr2csc_permute_kernelILj512Eil21rocsparse_complex_numIfEEEvT0_PKT1_PKT2_PKS3_PS4_PS7_.has_dyn_sized_stack, 0
	.set _ZN9rocsparseL22csr2csc_permute_kernelILj512Eil21rocsparse_complex_numIfEEEvT0_PKT1_PKT2_PKS3_PS4_PS7_.has_recursion, 0
	.set _ZN9rocsparseL22csr2csc_permute_kernelILj512Eil21rocsparse_complex_numIfEEEvT0_PKT1_PKT2_PKS3_PS4_PS7_.has_indirect_call, 0
	.section	.AMDGPU.csdata,"",@progbits
; Kernel info:
; codeLenInByte = 180
; TotalNumSgprs: 14
; NumVgprs: 6
; ScratchSize: 0
; MemoryBound: 0
; FloatMode: 240
; IeeeMode: 1
; LDSByteSize: 0 bytes/workgroup (compile time only)
; SGPRBlocks: 0
; VGPRBlocks: 0
; NumSGPRsForWavesPerEU: 14
; NumVGPRsForWavesPerEU: 6
; NamedBarCnt: 0
; Occupancy: 16
; WaveLimiterHint : 1
; COMPUTE_PGM_RSRC2:SCRATCH_EN: 0
; COMPUTE_PGM_RSRC2:USER_SGPR: 2
; COMPUTE_PGM_RSRC2:TRAP_HANDLER: 0
; COMPUTE_PGM_RSRC2:TGID_X_EN: 1
; COMPUTE_PGM_RSRC2:TGID_Y_EN: 0
; COMPUTE_PGM_RSRC2:TGID_Z_EN: 0
; COMPUTE_PGM_RSRC2:TIDIG_COMP_CNT: 0
	.section	.text._ZN9rocsparseL22csr2csc_permute_kernelILj512Ell21rocsparse_complex_numIfEEEvT0_PKT1_PKT2_PKS3_PS4_PS7_,"axG",@progbits,_ZN9rocsparseL22csr2csc_permute_kernelILj512Ell21rocsparse_complex_numIfEEEvT0_PKT1_PKT2_PKS3_PS4_PS7_,comdat
	.globl	_ZN9rocsparseL22csr2csc_permute_kernelILj512Ell21rocsparse_complex_numIfEEEvT0_PKT1_PKT2_PKS3_PS4_PS7_ ; -- Begin function _ZN9rocsparseL22csr2csc_permute_kernelILj512Ell21rocsparse_complex_numIfEEEvT0_PKT1_PKT2_PKS3_PS4_PS7_
	.p2align	8
	.type	_ZN9rocsparseL22csr2csc_permute_kernelILj512Ell21rocsparse_complex_numIfEEEvT0_PKT1_PKT2_PKS3_PS4_PS7_,@function
_ZN9rocsparseL22csr2csc_permute_kernelILj512Ell21rocsparse_complex_numIfEEEvT0_PKT1_PKT2_PKS3_PS4_PS7_: ; @_ZN9rocsparseL22csr2csc_permute_kernelILj512Ell21rocsparse_complex_numIfEEEvT0_PKT1_PKT2_PKS3_PS4_PS7_
; %bb.0:
	s_bfe_u32 s4, ttmp6, 0x4000c
	s_load_b64 s[2:3], s[0:1], 0x0
	s_add_co_i32 s4, s4, 1
	s_and_b32 s5, ttmp6, 15
	s_mul_i32 s4, ttmp9, s4
	s_getreg_b32 s6, hwreg(HW_REG_IB_STS2, 6, 4)
	s_add_co_i32 s5, s5, s4
	s_cmp_eq_u32 s6, 0
	s_cselect_b32 s4, ttmp9, s5
	s_delay_alu instid0(SALU_CYCLE_1) | instskip(NEXT) | instid1(VALU_DEP_1)
	v_lshl_or_b32 v0, s4, 9, v0
	v_ashrrev_i32_e32 v1, 31, v0
	s_wait_kmcnt 0x0
	s_delay_alu instid0(VALU_DEP_1)
	v_cmp_gt_i64_e32 vcc_lo, s[2:3], v[0:1]
	s_and_saveexec_b32 s2, vcc_lo
	s_cbranch_execz .LBB31_2
; %bb.1:
	s_load_b256 s[4:11], s[0:1], 0x8
	v_lshlrev_b64_e32 v[0:1], 3, v[0:1]
	s_wait_xcnt 0x0
	s_load_b64 s[0:1], s[0:1], 0x28
	s_wait_kmcnt 0x0
	s_delay_alu instid0(VALU_DEP_1) | instskip(SKIP_3) | instid1(VALU_DEP_1)
	v_add_nc_u64_e32 v[2:3], s[8:9], v[0:1]
	global_load_b64 v[2:3], v[2:3], off
	s_wait_loadcnt 0x0
	v_lshlrev_b64_e32 v[2:3], 3, v[2:3]
	v_add_nc_u64_e32 v[4:5], s[4:5], v[2:3]
	v_add_nc_u64_e32 v[2:3], s[6:7], v[2:3]
	global_load_b64 v[6:7], v[4:5], off
	global_load_b64 v[8:9], v[2:3], off
	s_wait_xcnt 0x0
	v_add_nc_u64_e32 v[2:3], s[10:11], v[0:1]
	v_add_nc_u64_e32 v[0:1], s[0:1], v[0:1]
	s_wait_loadcnt 0x1
	global_store_b64 v[2:3], v[6:7], off
	s_wait_loadcnt 0x0
	global_store_b64 v[0:1], v[8:9], off
.LBB31_2:
	s_endpgm
	.section	.rodata,"a",@progbits
	.p2align	6, 0x0
	.amdhsa_kernel _ZN9rocsparseL22csr2csc_permute_kernelILj512Ell21rocsparse_complex_numIfEEEvT0_PKT1_PKT2_PKS3_PS4_PS7_
		.amdhsa_group_segment_fixed_size 0
		.amdhsa_private_segment_fixed_size 0
		.amdhsa_kernarg_size 48
		.amdhsa_user_sgpr_count 2
		.amdhsa_user_sgpr_dispatch_ptr 0
		.amdhsa_user_sgpr_queue_ptr 0
		.amdhsa_user_sgpr_kernarg_segment_ptr 1
		.amdhsa_user_sgpr_dispatch_id 0
		.amdhsa_user_sgpr_kernarg_preload_length 0
		.amdhsa_user_sgpr_kernarg_preload_offset 0
		.amdhsa_user_sgpr_private_segment_size 0
		.amdhsa_wavefront_size32 1
		.amdhsa_uses_dynamic_stack 0
		.amdhsa_enable_private_segment 0
		.amdhsa_system_sgpr_workgroup_id_x 1
		.amdhsa_system_sgpr_workgroup_id_y 0
		.amdhsa_system_sgpr_workgroup_id_z 0
		.amdhsa_system_sgpr_workgroup_info 0
		.amdhsa_system_vgpr_workitem_id 0
		.amdhsa_next_free_vgpr 10
		.amdhsa_next_free_sgpr 12
		.amdhsa_named_barrier_count 0
		.amdhsa_reserve_vcc 1
		.amdhsa_float_round_mode_32 0
		.amdhsa_float_round_mode_16_64 0
		.amdhsa_float_denorm_mode_32 3
		.amdhsa_float_denorm_mode_16_64 3
		.amdhsa_fp16_overflow 0
		.amdhsa_memory_ordered 1
		.amdhsa_forward_progress 1
		.amdhsa_inst_pref_size 2
		.amdhsa_round_robin_scheduling 0
		.amdhsa_exception_fp_ieee_invalid_op 0
		.amdhsa_exception_fp_denorm_src 0
		.amdhsa_exception_fp_ieee_div_zero 0
		.amdhsa_exception_fp_ieee_overflow 0
		.amdhsa_exception_fp_ieee_underflow 0
		.amdhsa_exception_fp_ieee_inexact 0
		.amdhsa_exception_int_div_zero 0
	.end_amdhsa_kernel
	.section	.text._ZN9rocsparseL22csr2csc_permute_kernelILj512Ell21rocsparse_complex_numIfEEEvT0_PKT1_PKT2_PKS3_PS4_PS7_,"axG",@progbits,_ZN9rocsparseL22csr2csc_permute_kernelILj512Ell21rocsparse_complex_numIfEEEvT0_PKT1_PKT2_PKS3_PS4_PS7_,comdat
.Lfunc_end31:
	.size	_ZN9rocsparseL22csr2csc_permute_kernelILj512Ell21rocsparse_complex_numIfEEEvT0_PKT1_PKT2_PKS3_PS4_PS7_, .Lfunc_end31-_ZN9rocsparseL22csr2csc_permute_kernelILj512Ell21rocsparse_complex_numIfEEEvT0_PKT1_PKT2_PKS3_PS4_PS7_
                                        ; -- End function
	.set _ZN9rocsparseL22csr2csc_permute_kernelILj512Ell21rocsparse_complex_numIfEEEvT0_PKT1_PKT2_PKS3_PS4_PS7_.num_vgpr, 10
	.set _ZN9rocsparseL22csr2csc_permute_kernelILj512Ell21rocsparse_complex_numIfEEEvT0_PKT1_PKT2_PKS3_PS4_PS7_.num_agpr, 0
	.set _ZN9rocsparseL22csr2csc_permute_kernelILj512Ell21rocsparse_complex_numIfEEEvT0_PKT1_PKT2_PKS3_PS4_PS7_.numbered_sgpr, 12
	.set _ZN9rocsparseL22csr2csc_permute_kernelILj512Ell21rocsparse_complex_numIfEEEvT0_PKT1_PKT2_PKS3_PS4_PS7_.num_named_barrier, 0
	.set _ZN9rocsparseL22csr2csc_permute_kernelILj512Ell21rocsparse_complex_numIfEEEvT0_PKT1_PKT2_PKS3_PS4_PS7_.private_seg_size, 0
	.set _ZN9rocsparseL22csr2csc_permute_kernelILj512Ell21rocsparse_complex_numIfEEEvT0_PKT1_PKT2_PKS3_PS4_PS7_.uses_vcc, 1
	.set _ZN9rocsparseL22csr2csc_permute_kernelILj512Ell21rocsparse_complex_numIfEEEvT0_PKT1_PKT2_PKS3_PS4_PS7_.uses_flat_scratch, 0
	.set _ZN9rocsparseL22csr2csc_permute_kernelILj512Ell21rocsparse_complex_numIfEEEvT0_PKT1_PKT2_PKS3_PS4_PS7_.has_dyn_sized_stack, 0
	.set _ZN9rocsparseL22csr2csc_permute_kernelILj512Ell21rocsparse_complex_numIfEEEvT0_PKT1_PKT2_PKS3_PS4_PS7_.has_recursion, 0
	.set _ZN9rocsparseL22csr2csc_permute_kernelILj512Ell21rocsparse_complex_numIfEEEvT0_PKT1_PKT2_PKS3_PS4_PS7_.has_indirect_call, 0
	.section	.AMDGPU.csdata,"",@progbits
; Kernel info:
; codeLenInByte = 216
; TotalNumSgprs: 14
; NumVgprs: 10
; ScratchSize: 0
; MemoryBound: 1
; FloatMode: 240
; IeeeMode: 1
; LDSByteSize: 0 bytes/workgroup (compile time only)
; SGPRBlocks: 0
; VGPRBlocks: 0
; NumSGPRsForWavesPerEU: 14
; NumVGPRsForWavesPerEU: 10
; NamedBarCnt: 0
; Occupancy: 16
; WaveLimiterHint : 1
; COMPUTE_PGM_RSRC2:SCRATCH_EN: 0
; COMPUTE_PGM_RSRC2:USER_SGPR: 2
; COMPUTE_PGM_RSRC2:TRAP_HANDLER: 0
; COMPUTE_PGM_RSRC2:TGID_X_EN: 1
; COMPUTE_PGM_RSRC2:TGID_Y_EN: 0
; COMPUTE_PGM_RSRC2:TGID_Z_EN: 0
; COMPUTE_PGM_RSRC2:TIDIG_COMP_CNT: 0
	.section	.text._ZN9rocsparseL22csr2csc_permute_kernelILj512Eii21rocsparse_complex_numIdEEEvT0_PKT1_PKT2_PKS3_PS4_PS7_,"axG",@progbits,_ZN9rocsparseL22csr2csc_permute_kernelILj512Eii21rocsparse_complex_numIdEEEvT0_PKT1_PKT2_PKS3_PS4_PS7_,comdat
	.globl	_ZN9rocsparseL22csr2csc_permute_kernelILj512Eii21rocsparse_complex_numIdEEEvT0_PKT1_PKT2_PKS3_PS4_PS7_ ; -- Begin function _ZN9rocsparseL22csr2csc_permute_kernelILj512Eii21rocsparse_complex_numIdEEEvT0_PKT1_PKT2_PKS3_PS4_PS7_
	.p2align	8
	.type	_ZN9rocsparseL22csr2csc_permute_kernelILj512Eii21rocsparse_complex_numIdEEEvT0_PKT1_PKT2_PKS3_PS4_PS7_,@function
_ZN9rocsparseL22csr2csc_permute_kernelILj512Eii21rocsparse_complex_numIdEEEvT0_PKT1_PKT2_PKS3_PS4_PS7_: ; @_ZN9rocsparseL22csr2csc_permute_kernelILj512Eii21rocsparse_complex_numIdEEEvT0_PKT1_PKT2_PKS3_PS4_PS7_
; %bb.0:
	s_load_b32 s2, s[0:1], 0x0
	s_bfe_u32 s3, ttmp6, 0x4000c
	s_and_b32 s4, ttmp6, 15
	s_add_co_i32 s3, s3, 1
	s_getreg_b32 s5, hwreg(HW_REG_IB_STS2, 6, 4)
	s_mul_i32 s3, ttmp9, s3
	s_delay_alu instid0(SALU_CYCLE_1) | instskip(SKIP_2) | instid1(SALU_CYCLE_1)
	s_add_co_i32 s4, s4, s3
	s_cmp_eq_u32 s5, 0
	s_cselect_b32 s3, ttmp9, s4
	v_lshl_or_b32 v0, s3, 9, v0
	s_wait_kmcnt 0x0
	s_delay_alu instid0(VALU_DEP_1)
	v_cmp_gt_i32_e32 vcc_lo, s2, v0
	s_and_saveexec_b32 s2, vcc_lo
	s_cbranch_execz .LBB32_2
; %bb.1:
	s_load_b256 s[4:11], s[0:1], 0x8
	s_wait_kmcnt 0x0
	global_load_b32 v1, v0, s[8:9] scale_offset
	s_load_b64 s[0:1], s[0:1], 0x28
	s_wait_loadcnt 0x0
	s_clause 0x1
	global_load_b32 v6, v1, s[4:5] scale_offset
	global_load_b128 v[2:5], v1, s[6:7] scale_offset
	s_wait_loadcnt 0x1
	global_store_b32 v0, v6, s[10:11] scale_offset
	s_wait_loadcnt 0x0
	s_wait_kmcnt 0x0
	global_store_b128 v0, v[2:5], s[0:1] scale_offset
.LBB32_2:
	s_endpgm
	.section	.rodata,"a",@progbits
	.p2align	6, 0x0
	.amdhsa_kernel _ZN9rocsparseL22csr2csc_permute_kernelILj512Eii21rocsparse_complex_numIdEEEvT0_PKT1_PKT2_PKS3_PS4_PS7_
		.amdhsa_group_segment_fixed_size 0
		.amdhsa_private_segment_fixed_size 0
		.amdhsa_kernarg_size 48
		.amdhsa_user_sgpr_count 2
		.amdhsa_user_sgpr_dispatch_ptr 0
		.amdhsa_user_sgpr_queue_ptr 0
		.amdhsa_user_sgpr_kernarg_segment_ptr 1
		.amdhsa_user_sgpr_dispatch_id 0
		.amdhsa_user_sgpr_kernarg_preload_length 0
		.amdhsa_user_sgpr_kernarg_preload_offset 0
		.amdhsa_user_sgpr_private_segment_size 0
		.amdhsa_wavefront_size32 1
		.amdhsa_uses_dynamic_stack 0
		.amdhsa_enable_private_segment 0
		.amdhsa_system_sgpr_workgroup_id_x 1
		.amdhsa_system_sgpr_workgroup_id_y 0
		.amdhsa_system_sgpr_workgroup_id_z 0
		.amdhsa_system_sgpr_workgroup_info 0
		.amdhsa_system_vgpr_workitem_id 0
		.amdhsa_next_free_vgpr 7
		.amdhsa_next_free_sgpr 12
		.amdhsa_named_barrier_count 0
		.amdhsa_reserve_vcc 1
		.amdhsa_float_round_mode_32 0
		.amdhsa_float_round_mode_16_64 0
		.amdhsa_float_denorm_mode_32 3
		.amdhsa_float_denorm_mode_16_64 3
		.amdhsa_fp16_overflow 0
		.amdhsa_memory_ordered 1
		.amdhsa_forward_progress 1
		.amdhsa_inst_pref_size 2
		.amdhsa_round_robin_scheduling 0
		.amdhsa_exception_fp_ieee_invalid_op 0
		.amdhsa_exception_fp_denorm_src 0
		.amdhsa_exception_fp_ieee_div_zero 0
		.amdhsa_exception_fp_ieee_overflow 0
		.amdhsa_exception_fp_ieee_underflow 0
		.amdhsa_exception_fp_ieee_inexact 0
		.amdhsa_exception_int_div_zero 0
	.end_amdhsa_kernel
	.section	.text._ZN9rocsparseL22csr2csc_permute_kernelILj512Eii21rocsparse_complex_numIdEEEvT0_PKT1_PKT2_PKS3_PS4_PS7_,"axG",@progbits,_ZN9rocsparseL22csr2csc_permute_kernelILj512Eii21rocsparse_complex_numIdEEEvT0_PKT1_PKT2_PKS3_PS4_PS7_,comdat
.Lfunc_end32:
	.size	_ZN9rocsparseL22csr2csc_permute_kernelILj512Eii21rocsparse_complex_numIdEEEvT0_PKT1_PKT2_PKS3_PS4_PS7_, .Lfunc_end32-_ZN9rocsparseL22csr2csc_permute_kernelILj512Eii21rocsparse_complex_numIdEEEvT0_PKT1_PKT2_PKS3_PS4_PS7_
                                        ; -- End function
	.set _ZN9rocsparseL22csr2csc_permute_kernelILj512Eii21rocsparse_complex_numIdEEEvT0_PKT1_PKT2_PKS3_PS4_PS7_.num_vgpr, 7
	.set _ZN9rocsparseL22csr2csc_permute_kernelILj512Eii21rocsparse_complex_numIdEEEvT0_PKT1_PKT2_PKS3_PS4_PS7_.num_agpr, 0
	.set _ZN9rocsparseL22csr2csc_permute_kernelILj512Eii21rocsparse_complex_numIdEEEvT0_PKT1_PKT2_PKS3_PS4_PS7_.numbered_sgpr, 12
	.set _ZN9rocsparseL22csr2csc_permute_kernelILj512Eii21rocsparse_complex_numIdEEEvT0_PKT1_PKT2_PKS3_PS4_PS7_.num_named_barrier, 0
	.set _ZN9rocsparseL22csr2csc_permute_kernelILj512Eii21rocsparse_complex_numIdEEEvT0_PKT1_PKT2_PKS3_PS4_PS7_.private_seg_size, 0
	.set _ZN9rocsparseL22csr2csc_permute_kernelILj512Eii21rocsparse_complex_numIdEEEvT0_PKT1_PKT2_PKS3_PS4_PS7_.uses_vcc, 1
	.set _ZN9rocsparseL22csr2csc_permute_kernelILj512Eii21rocsparse_complex_numIdEEEvT0_PKT1_PKT2_PKS3_PS4_PS7_.uses_flat_scratch, 0
	.set _ZN9rocsparseL22csr2csc_permute_kernelILj512Eii21rocsparse_complex_numIdEEEvT0_PKT1_PKT2_PKS3_PS4_PS7_.has_dyn_sized_stack, 0
	.set _ZN9rocsparseL22csr2csc_permute_kernelILj512Eii21rocsparse_complex_numIdEEEvT0_PKT1_PKT2_PKS3_PS4_PS7_.has_recursion, 0
	.set _ZN9rocsparseL22csr2csc_permute_kernelILj512Eii21rocsparse_complex_numIdEEEvT0_PKT1_PKT2_PKS3_PS4_PS7_.has_indirect_call, 0
	.section	.AMDGPU.csdata,"",@progbits
; Kernel info:
; codeLenInByte = 180
; TotalNumSgprs: 14
; NumVgprs: 7
; ScratchSize: 0
; MemoryBound: 0
; FloatMode: 240
; IeeeMode: 1
; LDSByteSize: 0 bytes/workgroup (compile time only)
; SGPRBlocks: 0
; VGPRBlocks: 0
; NumSGPRsForWavesPerEU: 14
; NumVGPRsForWavesPerEU: 7
; NamedBarCnt: 0
; Occupancy: 16
; WaveLimiterHint : 1
; COMPUTE_PGM_RSRC2:SCRATCH_EN: 0
; COMPUTE_PGM_RSRC2:USER_SGPR: 2
; COMPUTE_PGM_RSRC2:TRAP_HANDLER: 0
; COMPUTE_PGM_RSRC2:TGID_X_EN: 1
; COMPUTE_PGM_RSRC2:TGID_Y_EN: 0
; COMPUTE_PGM_RSRC2:TGID_Z_EN: 0
; COMPUTE_PGM_RSRC2:TIDIG_COMP_CNT: 0
	.section	.text._ZN9rocsparseL22csr2csc_permute_kernelILj512Eli21rocsparse_complex_numIdEEEvT0_PKT1_PKT2_PKS3_PS4_PS7_,"axG",@progbits,_ZN9rocsparseL22csr2csc_permute_kernelILj512Eli21rocsparse_complex_numIdEEEvT0_PKT1_PKT2_PKS3_PS4_PS7_,comdat
	.globl	_ZN9rocsparseL22csr2csc_permute_kernelILj512Eli21rocsparse_complex_numIdEEEvT0_PKT1_PKT2_PKS3_PS4_PS7_ ; -- Begin function _ZN9rocsparseL22csr2csc_permute_kernelILj512Eli21rocsparse_complex_numIdEEEvT0_PKT1_PKT2_PKS3_PS4_PS7_
	.p2align	8
	.type	_ZN9rocsparseL22csr2csc_permute_kernelILj512Eli21rocsparse_complex_numIdEEEvT0_PKT1_PKT2_PKS3_PS4_PS7_,@function
_ZN9rocsparseL22csr2csc_permute_kernelILj512Eli21rocsparse_complex_numIdEEEvT0_PKT1_PKT2_PKS3_PS4_PS7_: ; @_ZN9rocsparseL22csr2csc_permute_kernelILj512Eli21rocsparse_complex_numIdEEEvT0_PKT1_PKT2_PKS3_PS4_PS7_
; %bb.0:
	s_bfe_u32 s4, ttmp6, 0x4000c
	s_load_b64 s[2:3], s[0:1], 0x0
	s_add_co_i32 s4, s4, 1
	s_and_b32 s5, ttmp6, 15
	s_mul_i32 s4, ttmp9, s4
	s_getreg_b32 s6, hwreg(HW_REG_IB_STS2, 6, 4)
	s_add_co_i32 s5, s5, s4
	s_cmp_eq_u32 s6, 0
	s_cselect_b32 s4, ttmp9, s5
	s_delay_alu instid0(SALU_CYCLE_1) | instskip(NEXT) | instid1(VALU_DEP_1)
	v_lshl_or_b32 v0, s4, 9, v0
	v_ashrrev_i32_e32 v1, 31, v0
	s_wait_kmcnt 0x0
	s_delay_alu instid0(VALU_DEP_1)
	v_cmp_gt_i64_e32 vcc_lo, s[2:3], v[0:1]
	s_and_saveexec_b32 s2, vcc_lo
	s_cbranch_execz .LBB33_2
; %bb.1:
	s_load_b256 s[4:11], s[0:1], 0x8
	s_wait_kmcnt 0x0
	v_lshl_add_u64 v[2:3], v[0:1], 3, s[8:9]
	s_load_b64 s[0:1], s[0:1], 0x28
	global_load_b64 v[2:3], v[2:3], off
	s_wait_loadcnt 0x0
	v_lshl_add_u64 v[6:7], v[2:3], 2, s[4:5]
	v_lshl_add_u64 v[8:9], v[2:3], 4, s[6:7]
	global_load_b32 v10, v[6:7], off
	global_load_b128 v[2:5], v[8:9], off
	s_wait_xcnt 0x1
	v_lshl_add_u64 v[6:7], v[0:1], 2, s[10:11]
	s_wait_kmcnt 0x0
	v_lshl_add_u64 v[0:1], v[0:1], 4, s[0:1]
	s_wait_loadcnt 0x1
	global_store_b32 v[6:7], v10, off
	s_wait_loadcnt 0x0
	global_store_b128 v[0:1], v[2:5], off
.LBB33_2:
	s_endpgm
	.section	.rodata,"a",@progbits
	.p2align	6, 0x0
	.amdhsa_kernel _ZN9rocsparseL22csr2csc_permute_kernelILj512Eli21rocsparse_complex_numIdEEEvT0_PKT1_PKT2_PKS3_PS4_PS7_
		.amdhsa_group_segment_fixed_size 0
		.amdhsa_private_segment_fixed_size 0
		.amdhsa_kernarg_size 48
		.amdhsa_user_sgpr_count 2
		.amdhsa_user_sgpr_dispatch_ptr 0
		.amdhsa_user_sgpr_queue_ptr 0
		.amdhsa_user_sgpr_kernarg_segment_ptr 1
		.amdhsa_user_sgpr_dispatch_id 0
		.amdhsa_user_sgpr_kernarg_preload_length 0
		.amdhsa_user_sgpr_kernarg_preload_offset 0
		.amdhsa_user_sgpr_private_segment_size 0
		.amdhsa_wavefront_size32 1
		.amdhsa_uses_dynamic_stack 0
		.amdhsa_enable_private_segment 0
		.amdhsa_system_sgpr_workgroup_id_x 1
		.amdhsa_system_sgpr_workgroup_id_y 0
		.amdhsa_system_sgpr_workgroup_id_z 0
		.amdhsa_system_sgpr_workgroup_info 0
		.amdhsa_system_vgpr_workitem_id 0
		.amdhsa_next_free_vgpr 11
		.amdhsa_next_free_sgpr 12
		.amdhsa_named_barrier_count 0
		.amdhsa_reserve_vcc 1
		.amdhsa_float_round_mode_32 0
		.amdhsa_float_round_mode_16_64 0
		.amdhsa_float_denorm_mode_32 3
		.amdhsa_float_denorm_mode_16_64 3
		.amdhsa_fp16_overflow 0
		.amdhsa_memory_ordered 1
		.amdhsa_forward_progress 1
		.amdhsa_inst_pref_size 2
		.amdhsa_round_robin_scheduling 0
		.amdhsa_exception_fp_ieee_invalid_op 0
		.amdhsa_exception_fp_denorm_src 0
		.amdhsa_exception_fp_ieee_div_zero 0
		.amdhsa_exception_fp_ieee_overflow 0
		.amdhsa_exception_fp_ieee_underflow 0
		.amdhsa_exception_fp_ieee_inexact 0
		.amdhsa_exception_int_div_zero 0
	.end_amdhsa_kernel
	.section	.text._ZN9rocsparseL22csr2csc_permute_kernelILj512Eli21rocsparse_complex_numIdEEEvT0_PKT1_PKT2_PKS3_PS4_PS7_,"axG",@progbits,_ZN9rocsparseL22csr2csc_permute_kernelILj512Eli21rocsparse_complex_numIdEEEvT0_PKT1_PKT2_PKS3_PS4_PS7_,comdat
.Lfunc_end33:
	.size	_ZN9rocsparseL22csr2csc_permute_kernelILj512Eli21rocsparse_complex_numIdEEEvT0_PKT1_PKT2_PKS3_PS4_PS7_, .Lfunc_end33-_ZN9rocsparseL22csr2csc_permute_kernelILj512Eli21rocsparse_complex_numIdEEEvT0_PKT1_PKT2_PKS3_PS4_PS7_
                                        ; -- End function
	.set _ZN9rocsparseL22csr2csc_permute_kernelILj512Eli21rocsparse_complex_numIdEEEvT0_PKT1_PKT2_PKS3_PS4_PS7_.num_vgpr, 11
	.set _ZN9rocsparseL22csr2csc_permute_kernelILj512Eli21rocsparse_complex_numIdEEEvT0_PKT1_PKT2_PKS3_PS4_PS7_.num_agpr, 0
	.set _ZN9rocsparseL22csr2csc_permute_kernelILj512Eli21rocsparse_complex_numIdEEEvT0_PKT1_PKT2_PKS3_PS4_PS7_.numbered_sgpr, 12
	.set _ZN9rocsparseL22csr2csc_permute_kernelILj512Eli21rocsparse_complex_numIdEEEvT0_PKT1_PKT2_PKS3_PS4_PS7_.num_named_barrier, 0
	.set _ZN9rocsparseL22csr2csc_permute_kernelILj512Eli21rocsparse_complex_numIdEEEvT0_PKT1_PKT2_PKS3_PS4_PS7_.private_seg_size, 0
	.set _ZN9rocsparseL22csr2csc_permute_kernelILj512Eli21rocsparse_complex_numIdEEEvT0_PKT1_PKT2_PKS3_PS4_PS7_.uses_vcc, 1
	.set _ZN9rocsparseL22csr2csc_permute_kernelILj512Eli21rocsparse_complex_numIdEEEvT0_PKT1_PKT2_PKS3_PS4_PS7_.uses_flat_scratch, 0
	.set _ZN9rocsparseL22csr2csc_permute_kernelILj512Eli21rocsparse_complex_numIdEEEvT0_PKT1_PKT2_PKS3_PS4_PS7_.has_dyn_sized_stack, 0
	.set _ZN9rocsparseL22csr2csc_permute_kernelILj512Eli21rocsparse_complex_numIdEEEvT0_PKT1_PKT2_PKS3_PS4_PS7_.has_recursion, 0
	.set _ZN9rocsparseL22csr2csc_permute_kernelILj512Eli21rocsparse_complex_numIdEEEvT0_PKT1_PKT2_PKS3_PS4_PS7_.has_indirect_call, 0
	.section	.AMDGPU.csdata,"",@progbits
; Kernel info:
; codeLenInByte = 224
; TotalNumSgprs: 14
; NumVgprs: 11
; ScratchSize: 0
; MemoryBound: 0
; FloatMode: 240
; IeeeMode: 1
; LDSByteSize: 0 bytes/workgroup (compile time only)
; SGPRBlocks: 0
; VGPRBlocks: 0
; NumSGPRsForWavesPerEU: 14
; NumVGPRsForWavesPerEU: 11
; NamedBarCnt: 0
; Occupancy: 16
; WaveLimiterHint : 1
; COMPUTE_PGM_RSRC2:SCRATCH_EN: 0
; COMPUTE_PGM_RSRC2:USER_SGPR: 2
; COMPUTE_PGM_RSRC2:TRAP_HANDLER: 0
; COMPUTE_PGM_RSRC2:TGID_X_EN: 1
; COMPUTE_PGM_RSRC2:TGID_Y_EN: 0
; COMPUTE_PGM_RSRC2:TGID_Z_EN: 0
; COMPUTE_PGM_RSRC2:TIDIG_COMP_CNT: 0
	.section	.text._ZN9rocsparseL22csr2csc_permute_kernelILj512Eil21rocsparse_complex_numIdEEEvT0_PKT1_PKT2_PKS3_PS4_PS7_,"axG",@progbits,_ZN9rocsparseL22csr2csc_permute_kernelILj512Eil21rocsparse_complex_numIdEEEvT0_PKT1_PKT2_PKS3_PS4_PS7_,comdat
	.globl	_ZN9rocsparseL22csr2csc_permute_kernelILj512Eil21rocsparse_complex_numIdEEEvT0_PKT1_PKT2_PKS3_PS4_PS7_ ; -- Begin function _ZN9rocsparseL22csr2csc_permute_kernelILj512Eil21rocsparse_complex_numIdEEEvT0_PKT1_PKT2_PKS3_PS4_PS7_
	.p2align	8
	.type	_ZN9rocsparseL22csr2csc_permute_kernelILj512Eil21rocsparse_complex_numIdEEEvT0_PKT1_PKT2_PKS3_PS4_PS7_,@function
_ZN9rocsparseL22csr2csc_permute_kernelILj512Eil21rocsparse_complex_numIdEEEvT0_PKT1_PKT2_PKS3_PS4_PS7_: ; @_ZN9rocsparseL22csr2csc_permute_kernelILj512Eil21rocsparse_complex_numIdEEEvT0_PKT1_PKT2_PKS3_PS4_PS7_
; %bb.0:
	s_load_b32 s2, s[0:1], 0x0
	s_bfe_u32 s3, ttmp6, 0x4000c
	s_and_b32 s4, ttmp6, 15
	s_add_co_i32 s3, s3, 1
	s_getreg_b32 s5, hwreg(HW_REG_IB_STS2, 6, 4)
	s_mul_i32 s3, ttmp9, s3
	s_delay_alu instid0(SALU_CYCLE_1) | instskip(SKIP_2) | instid1(SALU_CYCLE_1)
	s_add_co_i32 s4, s4, s3
	s_cmp_eq_u32 s5, 0
	s_cselect_b32 s3, ttmp9, s4
	v_lshl_or_b32 v0, s3, 9, v0
	s_wait_kmcnt 0x0
	s_delay_alu instid0(VALU_DEP_1)
	v_cmp_gt_i32_e32 vcc_lo, s2, v0
	s_and_saveexec_b32 s2, vcc_lo
	s_cbranch_execz .LBB34_2
; %bb.1:
	s_load_b256 s[4:11], s[0:1], 0x8
	s_wait_kmcnt 0x0
	global_load_b32 v1, v0, s[8:9] scale_offset
	s_load_b64 s[0:1], s[0:1], 0x28
	s_wait_loadcnt 0x0
	s_clause 0x1
	global_load_b64 v[6:7], v1, s[4:5] scale_offset
	global_load_b128 v[2:5], v1, s[6:7] scale_offset
	s_wait_loadcnt 0x1
	global_store_b64 v0, v[6:7], s[10:11] scale_offset
	s_wait_loadcnt 0x0
	s_wait_kmcnt 0x0
	global_store_b128 v0, v[2:5], s[0:1] scale_offset
.LBB34_2:
	s_endpgm
	.section	.rodata,"a",@progbits
	.p2align	6, 0x0
	.amdhsa_kernel _ZN9rocsparseL22csr2csc_permute_kernelILj512Eil21rocsparse_complex_numIdEEEvT0_PKT1_PKT2_PKS3_PS4_PS7_
		.amdhsa_group_segment_fixed_size 0
		.amdhsa_private_segment_fixed_size 0
		.amdhsa_kernarg_size 48
		.amdhsa_user_sgpr_count 2
		.amdhsa_user_sgpr_dispatch_ptr 0
		.amdhsa_user_sgpr_queue_ptr 0
		.amdhsa_user_sgpr_kernarg_segment_ptr 1
		.amdhsa_user_sgpr_dispatch_id 0
		.amdhsa_user_sgpr_kernarg_preload_length 0
		.amdhsa_user_sgpr_kernarg_preload_offset 0
		.amdhsa_user_sgpr_private_segment_size 0
		.amdhsa_wavefront_size32 1
		.amdhsa_uses_dynamic_stack 0
		.amdhsa_enable_private_segment 0
		.amdhsa_system_sgpr_workgroup_id_x 1
		.amdhsa_system_sgpr_workgroup_id_y 0
		.amdhsa_system_sgpr_workgroup_id_z 0
		.amdhsa_system_sgpr_workgroup_info 0
		.amdhsa_system_vgpr_workitem_id 0
		.amdhsa_next_free_vgpr 8
		.amdhsa_next_free_sgpr 12
		.amdhsa_named_barrier_count 0
		.amdhsa_reserve_vcc 1
		.amdhsa_float_round_mode_32 0
		.amdhsa_float_round_mode_16_64 0
		.amdhsa_float_denorm_mode_32 3
		.amdhsa_float_denorm_mode_16_64 3
		.amdhsa_fp16_overflow 0
		.amdhsa_memory_ordered 1
		.amdhsa_forward_progress 1
		.amdhsa_inst_pref_size 2
		.amdhsa_round_robin_scheduling 0
		.amdhsa_exception_fp_ieee_invalid_op 0
		.amdhsa_exception_fp_denorm_src 0
		.amdhsa_exception_fp_ieee_div_zero 0
		.amdhsa_exception_fp_ieee_overflow 0
		.amdhsa_exception_fp_ieee_underflow 0
		.amdhsa_exception_fp_ieee_inexact 0
		.amdhsa_exception_int_div_zero 0
	.end_amdhsa_kernel
	.section	.text._ZN9rocsparseL22csr2csc_permute_kernelILj512Eil21rocsparse_complex_numIdEEEvT0_PKT1_PKT2_PKS3_PS4_PS7_,"axG",@progbits,_ZN9rocsparseL22csr2csc_permute_kernelILj512Eil21rocsparse_complex_numIdEEEvT0_PKT1_PKT2_PKS3_PS4_PS7_,comdat
.Lfunc_end34:
	.size	_ZN9rocsparseL22csr2csc_permute_kernelILj512Eil21rocsparse_complex_numIdEEEvT0_PKT1_PKT2_PKS3_PS4_PS7_, .Lfunc_end34-_ZN9rocsparseL22csr2csc_permute_kernelILj512Eil21rocsparse_complex_numIdEEEvT0_PKT1_PKT2_PKS3_PS4_PS7_
                                        ; -- End function
	.set _ZN9rocsparseL22csr2csc_permute_kernelILj512Eil21rocsparse_complex_numIdEEEvT0_PKT1_PKT2_PKS3_PS4_PS7_.num_vgpr, 8
	.set _ZN9rocsparseL22csr2csc_permute_kernelILj512Eil21rocsparse_complex_numIdEEEvT0_PKT1_PKT2_PKS3_PS4_PS7_.num_agpr, 0
	.set _ZN9rocsparseL22csr2csc_permute_kernelILj512Eil21rocsparse_complex_numIdEEEvT0_PKT1_PKT2_PKS3_PS4_PS7_.numbered_sgpr, 12
	.set _ZN9rocsparseL22csr2csc_permute_kernelILj512Eil21rocsparse_complex_numIdEEEvT0_PKT1_PKT2_PKS3_PS4_PS7_.num_named_barrier, 0
	.set _ZN9rocsparseL22csr2csc_permute_kernelILj512Eil21rocsparse_complex_numIdEEEvT0_PKT1_PKT2_PKS3_PS4_PS7_.private_seg_size, 0
	.set _ZN9rocsparseL22csr2csc_permute_kernelILj512Eil21rocsparse_complex_numIdEEEvT0_PKT1_PKT2_PKS3_PS4_PS7_.uses_vcc, 1
	.set _ZN9rocsparseL22csr2csc_permute_kernelILj512Eil21rocsparse_complex_numIdEEEvT0_PKT1_PKT2_PKS3_PS4_PS7_.uses_flat_scratch, 0
	.set _ZN9rocsparseL22csr2csc_permute_kernelILj512Eil21rocsparse_complex_numIdEEEvT0_PKT1_PKT2_PKS3_PS4_PS7_.has_dyn_sized_stack, 0
	.set _ZN9rocsparseL22csr2csc_permute_kernelILj512Eil21rocsparse_complex_numIdEEEvT0_PKT1_PKT2_PKS3_PS4_PS7_.has_recursion, 0
	.set _ZN9rocsparseL22csr2csc_permute_kernelILj512Eil21rocsparse_complex_numIdEEEvT0_PKT1_PKT2_PKS3_PS4_PS7_.has_indirect_call, 0
	.section	.AMDGPU.csdata,"",@progbits
; Kernel info:
; codeLenInByte = 180
; TotalNumSgprs: 14
; NumVgprs: 8
; ScratchSize: 0
; MemoryBound: 0
; FloatMode: 240
; IeeeMode: 1
; LDSByteSize: 0 bytes/workgroup (compile time only)
; SGPRBlocks: 0
; VGPRBlocks: 0
; NumSGPRsForWavesPerEU: 14
; NumVGPRsForWavesPerEU: 8
; NamedBarCnt: 0
; Occupancy: 16
; WaveLimiterHint : 1
; COMPUTE_PGM_RSRC2:SCRATCH_EN: 0
; COMPUTE_PGM_RSRC2:USER_SGPR: 2
; COMPUTE_PGM_RSRC2:TRAP_HANDLER: 0
; COMPUTE_PGM_RSRC2:TGID_X_EN: 1
; COMPUTE_PGM_RSRC2:TGID_Y_EN: 0
; COMPUTE_PGM_RSRC2:TGID_Z_EN: 0
; COMPUTE_PGM_RSRC2:TIDIG_COMP_CNT: 0
	.section	.text._ZN9rocsparseL22csr2csc_permute_kernelILj512Ell21rocsparse_complex_numIdEEEvT0_PKT1_PKT2_PKS3_PS4_PS7_,"axG",@progbits,_ZN9rocsparseL22csr2csc_permute_kernelILj512Ell21rocsparse_complex_numIdEEEvT0_PKT1_PKT2_PKS3_PS4_PS7_,comdat
	.globl	_ZN9rocsparseL22csr2csc_permute_kernelILj512Ell21rocsparse_complex_numIdEEEvT0_PKT1_PKT2_PKS3_PS4_PS7_ ; -- Begin function _ZN9rocsparseL22csr2csc_permute_kernelILj512Ell21rocsparse_complex_numIdEEEvT0_PKT1_PKT2_PKS3_PS4_PS7_
	.p2align	8
	.type	_ZN9rocsparseL22csr2csc_permute_kernelILj512Ell21rocsparse_complex_numIdEEEvT0_PKT1_PKT2_PKS3_PS4_PS7_,@function
_ZN9rocsparseL22csr2csc_permute_kernelILj512Ell21rocsparse_complex_numIdEEEvT0_PKT1_PKT2_PKS3_PS4_PS7_: ; @_ZN9rocsparseL22csr2csc_permute_kernelILj512Ell21rocsparse_complex_numIdEEEvT0_PKT1_PKT2_PKS3_PS4_PS7_
; %bb.0:
	s_bfe_u32 s4, ttmp6, 0x4000c
	s_load_b64 s[2:3], s[0:1], 0x0
	s_add_co_i32 s4, s4, 1
	s_and_b32 s5, ttmp6, 15
	s_mul_i32 s4, ttmp9, s4
	s_getreg_b32 s6, hwreg(HW_REG_IB_STS2, 6, 4)
	s_add_co_i32 s5, s5, s4
	s_cmp_eq_u32 s6, 0
	s_cselect_b32 s4, ttmp9, s5
	s_delay_alu instid0(SALU_CYCLE_1) | instskip(NEXT) | instid1(VALU_DEP_1)
	v_lshl_or_b32 v0, s4, 9, v0
	v_ashrrev_i32_e32 v1, 31, v0
	s_wait_kmcnt 0x0
	s_delay_alu instid0(VALU_DEP_1)
	v_cmp_gt_i64_e32 vcc_lo, s[2:3], v[0:1]
	s_and_saveexec_b32 s2, vcc_lo
	s_cbranch_execz .LBB35_2
; %bb.1:
	s_load_b256 s[4:11], s[0:1], 0x8
	v_lshlrev_b64_e32 v[6:7], 3, v[0:1]
	s_wait_xcnt 0x0
	s_load_b64 s[0:1], s[0:1], 0x28
	s_wait_kmcnt 0x0
	s_delay_alu instid0(VALU_DEP_1)
	v_add_nc_u64_e32 v[2:3], s[8:9], v[6:7]
	v_add_nc_u64_e32 v[6:7], s[10:11], v[6:7]
	v_lshl_add_u64 v[0:1], v[0:1], 4, s[0:1]
	global_load_b64 v[2:3], v[2:3], off
	s_wait_loadcnt 0x0
	v_lshl_add_u64 v[8:9], v[2:3], 3, s[4:5]
	v_lshl_add_u64 v[10:11], v[2:3], 4, s[6:7]
	global_load_b64 v[12:13], v[8:9], off
	global_load_b128 v[2:5], v[10:11], off
	s_wait_loadcnt 0x1
	global_store_b64 v[6:7], v[12:13], off
	s_wait_loadcnt 0x0
	global_store_b128 v[0:1], v[2:5], off
.LBB35_2:
	s_endpgm
	.section	.rodata,"a",@progbits
	.p2align	6, 0x0
	.amdhsa_kernel _ZN9rocsparseL22csr2csc_permute_kernelILj512Ell21rocsparse_complex_numIdEEEvT0_PKT1_PKT2_PKS3_PS4_PS7_
		.amdhsa_group_segment_fixed_size 0
		.amdhsa_private_segment_fixed_size 0
		.amdhsa_kernarg_size 48
		.amdhsa_user_sgpr_count 2
		.amdhsa_user_sgpr_dispatch_ptr 0
		.amdhsa_user_sgpr_queue_ptr 0
		.amdhsa_user_sgpr_kernarg_segment_ptr 1
		.amdhsa_user_sgpr_dispatch_id 0
		.amdhsa_user_sgpr_kernarg_preload_length 0
		.amdhsa_user_sgpr_kernarg_preload_offset 0
		.amdhsa_user_sgpr_private_segment_size 0
		.amdhsa_wavefront_size32 1
		.amdhsa_uses_dynamic_stack 0
		.amdhsa_enable_private_segment 0
		.amdhsa_system_sgpr_workgroup_id_x 1
		.amdhsa_system_sgpr_workgroup_id_y 0
		.amdhsa_system_sgpr_workgroup_id_z 0
		.amdhsa_system_sgpr_workgroup_info 0
		.amdhsa_system_vgpr_workitem_id 0
		.amdhsa_next_free_vgpr 14
		.amdhsa_next_free_sgpr 12
		.amdhsa_named_barrier_count 0
		.amdhsa_reserve_vcc 1
		.amdhsa_float_round_mode_32 0
		.amdhsa_float_round_mode_16_64 0
		.amdhsa_float_denorm_mode_32 3
		.amdhsa_float_denorm_mode_16_64 3
		.amdhsa_fp16_overflow 0
		.amdhsa_memory_ordered 1
		.amdhsa_forward_progress 1
		.amdhsa_inst_pref_size 2
		.amdhsa_round_robin_scheduling 0
		.amdhsa_exception_fp_ieee_invalid_op 0
		.amdhsa_exception_fp_denorm_src 0
		.amdhsa_exception_fp_ieee_div_zero 0
		.amdhsa_exception_fp_ieee_overflow 0
		.amdhsa_exception_fp_ieee_underflow 0
		.amdhsa_exception_fp_ieee_inexact 0
		.amdhsa_exception_int_div_zero 0
	.end_amdhsa_kernel
	.section	.text._ZN9rocsparseL22csr2csc_permute_kernelILj512Ell21rocsparse_complex_numIdEEEvT0_PKT1_PKT2_PKS3_PS4_PS7_,"axG",@progbits,_ZN9rocsparseL22csr2csc_permute_kernelILj512Ell21rocsparse_complex_numIdEEEvT0_PKT1_PKT2_PKS3_PS4_PS7_,comdat
.Lfunc_end35:
	.size	_ZN9rocsparseL22csr2csc_permute_kernelILj512Ell21rocsparse_complex_numIdEEEvT0_PKT1_PKT2_PKS3_PS4_PS7_, .Lfunc_end35-_ZN9rocsparseL22csr2csc_permute_kernelILj512Ell21rocsparse_complex_numIdEEEvT0_PKT1_PKT2_PKS3_PS4_PS7_
                                        ; -- End function
	.set _ZN9rocsparseL22csr2csc_permute_kernelILj512Ell21rocsparse_complex_numIdEEEvT0_PKT1_PKT2_PKS3_PS4_PS7_.num_vgpr, 14
	.set _ZN9rocsparseL22csr2csc_permute_kernelILj512Ell21rocsparse_complex_numIdEEEvT0_PKT1_PKT2_PKS3_PS4_PS7_.num_agpr, 0
	.set _ZN9rocsparseL22csr2csc_permute_kernelILj512Ell21rocsparse_complex_numIdEEEvT0_PKT1_PKT2_PKS3_PS4_PS7_.numbered_sgpr, 12
	.set _ZN9rocsparseL22csr2csc_permute_kernelILj512Ell21rocsparse_complex_numIdEEEvT0_PKT1_PKT2_PKS3_PS4_PS7_.num_named_barrier, 0
	.set _ZN9rocsparseL22csr2csc_permute_kernelILj512Ell21rocsparse_complex_numIdEEEvT0_PKT1_PKT2_PKS3_PS4_PS7_.private_seg_size, 0
	.set _ZN9rocsparseL22csr2csc_permute_kernelILj512Ell21rocsparse_complex_numIdEEEvT0_PKT1_PKT2_PKS3_PS4_PS7_.uses_vcc, 1
	.set _ZN9rocsparseL22csr2csc_permute_kernelILj512Ell21rocsparse_complex_numIdEEEvT0_PKT1_PKT2_PKS3_PS4_PS7_.uses_flat_scratch, 0
	.set _ZN9rocsparseL22csr2csc_permute_kernelILj512Ell21rocsparse_complex_numIdEEEvT0_PKT1_PKT2_PKS3_PS4_PS7_.has_dyn_sized_stack, 0
	.set _ZN9rocsparseL22csr2csc_permute_kernelILj512Ell21rocsparse_complex_numIdEEEvT0_PKT1_PKT2_PKS3_PS4_PS7_.has_recursion, 0
	.set _ZN9rocsparseL22csr2csc_permute_kernelILj512Ell21rocsparse_complex_numIdEEEvT0_PKT1_PKT2_PKS3_PS4_PS7_.has_indirect_call, 0
	.section	.AMDGPU.csdata,"",@progbits
; Kernel info:
; codeLenInByte = 220
; TotalNumSgprs: 14
; NumVgprs: 14
; ScratchSize: 0
; MemoryBound: 0
; FloatMode: 240
; IeeeMode: 1
; LDSByteSize: 0 bytes/workgroup (compile time only)
; SGPRBlocks: 0
; VGPRBlocks: 0
; NumSGPRsForWavesPerEU: 14
; NumVGPRsForWavesPerEU: 14
; NamedBarCnt: 0
; Occupancy: 16
; WaveLimiterHint : 1
; COMPUTE_PGM_RSRC2:SCRATCH_EN: 0
; COMPUTE_PGM_RSRC2:USER_SGPR: 2
; COMPUTE_PGM_RSRC2:TRAP_HANDLER: 0
; COMPUTE_PGM_RSRC2:TGID_X_EN: 1
; COMPUTE_PGM_RSRC2:TGID_Y_EN: 0
; COMPUTE_PGM_RSRC2:TGID_Z_EN: 0
; COMPUTE_PGM_RSRC2:TIDIG_COMP_CNT: 0
	.section	.AMDGPU.gpr_maximums,"",@progbits
	.set amdgpu.max_num_vgpr, 0
	.set amdgpu.max_num_agpr, 0
	.set amdgpu.max_num_sgpr, 0
	.section	.AMDGPU.csdata,"",@progbits
	.type	__hip_cuid_aa2bc90fa45610d1,@object ; @__hip_cuid_aa2bc90fa45610d1
	.section	.bss,"aw",@nobits
	.globl	__hip_cuid_aa2bc90fa45610d1
__hip_cuid_aa2bc90fa45610d1:
	.byte	0                               ; 0x0
	.size	__hip_cuid_aa2bc90fa45610d1, 1

	.ident	"AMD clang version 22.0.0git (https://github.com/RadeonOpenCompute/llvm-project roc-7.2.4 26084 f58b06dce1f9c15707c5f808fd002e18c2accf7e)"
	.section	".note.GNU-stack","",@progbits
	.addrsig
	.addrsig_sym __hip_cuid_aa2bc90fa45610d1
	.amdgpu_metadata
---
amdhsa.kernels:
  - .args:
      - .offset:         0
        .size:           4
        .value_kind:     by_value
      - .actual_access:  read_only
        .address_space:  global
        .offset:         8
        .size:           8
        .value_kind:     global_buffer
      - .actual_access:  read_only
        .address_space:  global
        .offset:         16
        .size:           8
        .value_kind:     global_buffer
      - .actual_access:  read_only
        .address_space:  global
        .offset:         24
        .size:           8
        .value_kind:     global_buffer
      - .actual_access:  write_only
        .address_space:  global
        .offset:         32
        .size:           8
        .value_kind:     global_buffer
      - .actual_access:  write_only
        .address_space:  global
        .offset:         40
        .size:           8
        .value_kind:     global_buffer
    .group_segment_fixed_size: 0
    .kernarg_segment_align: 8
    .kernarg_segment_size: 48
    .language:       OpenCL C
    .language_version:
      - 2
      - 0
    .max_flat_workgroup_size: 512
    .name:           _ZN9rocsparseL22csr2csc_permute_kernelILj512EiiaEEvT0_PKT1_PKT2_PKS1_PS2_PS5_
    .private_segment_fixed_size: 0
    .sgpr_count:     14
    .sgpr_spill_count: 0
    .symbol:         _ZN9rocsparseL22csr2csc_permute_kernelILj512EiiaEEvT0_PKT1_PKT2_PKS1_PS2_PS5_.kd
    .uniform_work_group_size: 1
    .uses_dynamic_stack: false
    .vgpr_count:     4
    .vgpr_spill_count: 0
    .wavefront_size: 32
  - .args:
      - .offset:         0
        .size:           8
        .value_kind:     by_value
      - .actual_access:  read_only
        .address_space:  global
        .offset:         8
        .size:           8
        .value_kind:     global_buffer
      - .actual_access:  read_only
        .address_space:  global
        .offset:         16
        .size:           8
        .value_kind:     global_buffer
      - .actual_access:  read_only
        .address_space:  global
        .offset:         24
        .size:           8
        .value_kind:     global_buffer
      - .actual_access:  write_only
        .address_space:  global
        .offset:         32
        .size:           8
        .value_kind:     global_buffer
      - .actual_access:  write_only
        .address_space:  global
        .offset:         40
        .size:           8
        .value_kind:     global_buffer
    .group_segment_fixed_size: 0
    .kernarg_segment_align: 8
    .kernarg_segment_size: 48
    .language:       OpenCL C
    .language_version:
      - 2
      - 0
    .max_flat_workgroup_size: 512
    .name:           _ZN9rocsparseL22csr2csc_permute_kernelILj512EliaEEvT0_PKT1_PKT2_PKS1_PS2_PS5_
    .private_segment_fixed_size: 0
    .sgpr_count:     14
    .sgpr_spill_count: 0
    .symbol:         _ZN9rocsparseL22csr2csc_permute_kernelILj512EliaEEvT0_PKT1_PKT2_PKS1_PS2_PS5_.kd
    .uniform_work_group_size: 1
    .uses_dynamic_stack: false
    .vgpr_count:     8
    .vgpr_spill_count: 0
    .wavefront_size: 32
  - .args:
      - .offset:         0
        .size:           4
        .value_kind:     by_value
      - .actual_access:  read_only
        .address_space:  global
        .offset:         8
        .size:           8
        .value_kind:     global_buffer
      - .actual_access:  read_only
        .address_space:  global
        .offset:         16
        .size:           8
        .value_kind:     global_buffer
      - .actual_access:  read_only
        .address_space:  global
        .offset:         24
        .size:           8
        .value_kind:     global_buffer
      - .actual_access:  write_only
        .address_space:  global
        .offset:         32
        .size:           8
        .value_kind:     global_buffer
      - .actual_access:  write_only
        .address_space:  global
        .offset:         40
        .size:           8
        .value_kind:     global_buffer
    .group_segment_fixed_size: 0
    .kernarg_segment_align: 8
    .kernarg_segment_size: 48
    .language:       OpenCL C
    .language_version:
      - 2
      - 0
    .max_flat_workgroup_size: 512
    .name:           _ZN9rocsparseL22csr2csc_permute_kernelILj512EilaEEvT0_PKT1_PKT2_PKS1_PS2_PS5_
    .private_segment_fixed_size: 0
    .sgpr_count:     14
    .sgpr_spill_count: 0
    .symbol:         _ZN9rocsparseL22csr2csc_permute_kernelILj512EilaEEvT0_PKT1_PKT2_PKS1_PS2_PS5_.kd
    .uniform_work_group_size: 1
    .uses_dynamic_stack: false
    .vgpr_count:     5
    .vgpr_spill_count: 0
    .wavefront_size: 32
  - .args:
      - .offset:         0
        .size:           8
        .value_kind:     by_value
      - .actual_access:  read_only
        .address_space:  global
        .offset:         8
        .size:           8
        .value_kind:     global_buffer
      - .actual_access:  read_only
        .address_space:  global
        .offset:         16
        .size:           8
        .value_kind:     global_buffer
      - .actual_access:  read_only
        .address_space:  global
        .offset:         24
        .size:           8
        .value_kind:     global_buffer
      - .actual_access:  write_only
        .address_space:  global
        .offset:         32
        .size:           8
        .value_kind:     global_buffer
      - .actual_access:  write_only
        .address_space:  global
        .offset:         40
        .size:           8
        .value_kind:     global_buffer
    .group_segment_fixed_size: 0
    .kernarg_segment_align: 8
    .kernarg_segment_size: 48
    .language:       OpenCL C
    .language_version:
      - 2
      - 0
    .max_flat_workgroup_size: 512
    .name:           _ZN9rocsparseL22csr2csc_permute_kernelILj512EllaEEvT0_PKT1_PKT2_PKS1_PS2_PS5_
    .private_segment_fixed_size: 0
    .sgpr_count:     14
    .sgpr_spill_count: 0
    .symbol:         _ZN9rocsparseL22csr2csc_permute_kernelILj512EllaEEvT0_PKT1_PKT2_PKS1_PS2_PS5_.kd
    .uniform_work_group_size: 1
    .uses_dynamic_stack: false
    .vgpr_count:     11
    .vgpr_spill_count: 0
    .wavefront_size: 32
  - .args:
      - .offset:         0
        .size:           4
        .value_kind:     by_value
      - .actual_access:  read_only
        .address_space:  global
        .offset:         8
        .size:           8
        .value_kind:     global_buffer
      - .actual_access:  read_only
        .address_space:  global
        .offset:         16
        .size:           8
        .value_kind:     global_buffer
      - .actual_access:  read_only
        .address_space:  global
        .offset:         24
        .size:           8
        .value_kind:     global_buffer
      - .actual_access:  write_only
        .address_space:  global
        .offset:         32
        .size:           8
        .value_kind:     global_buffer
      - .actual_access:  write_only
        .address_space:  global
        .offset:         40
        .size:           8
        .value_kind:     global_buffer
    .group_segment_fixed_size: 0
    .kernarg_segment_align: 8
    .kernarg_segment_size: 48
    .language:       OpenCL C
    .language_version:
      - 2
      - 0
    .max_flat_workgroup_size: 512
    .name:           _ZN9rocsparseL22csr2csc_permute_kernelILj512EiihEEvT0_PKT1_PKT2_PKS1_PS2_PS5_
    .private_segment_fixed_size: 0
    .sgpr_count:     14
    .sgpr_spill_count: 0
    .symbol:         _ZN9rocsparseL22csr2csc_permute_kernelILj512EiihEEvT0_PKT1_PKT2_PKS1_PS2_PS5_.kd
    .uniform_work_group_size: 1
    .uses_dynamic_stack: false
    .vgpr_count:     4
    .vgpr_spill_count: 0
    .wavefront_size: 32
  - .args:
      - .offset:         0
        .size:           8
        .value_kind:     by_value
      - .actual_access:  read_only
        .address_space:  global
        .offset:         8
        .size:           8
        .value_kind:     global_buffer
      - .actual_access:  read_only
        .address_space:  global
        .offset:         16
        .size:           8
        .value_kind:     global_buffer
      - .actual_access:  read_only
        .address_space:  global
        .offset:         24
        .size:           8
        .value_kind:     global_buffer
      - .actual_access:  write_only
        .address_space:  global
        .offset:         32
        .size:           8
        .value_kind:     global_buffer
      - .actual_access:  write_only
        .address_space:  global
        .offset:         40
        .size:           8
        .value_kind:     global_buffer
    .group_segment_fixed_size: 0
    .kernarg_segment_align: 8
    .kernarg_segment_size: 48
    .language:       OpenCL C
    .language_version:
      - 2
      - 0
    .max_flat_workgroup_size: 512
    .name:           _ZN9rocsparseL22csr2csc_permute_kernelILj512ElihEEvT0_PKT1_PKT2_PKS1_PS2_PS5_
    .private_segment_fixed_size: 0
    .sgpr_count:     14
    .sgpr_spill_count: 0
    .symbol:         _ZN9rocsparseL22csr2csc_permute_kernelILj512ElihEEvT0_PKT1_PKT2_PKS1_PS2_PS5_.kd
    .uniform_work_group_size: 1
    .uses_dynamic_stack: false
    .vgpr_count:     8
    .vgpr_spill_count: 0
    .wavefront_size: 32
  - .args:
      - .offset:         0
        .size:           4
        .value_kind:     by_value
      - .actual_access:  read_only
        .address_space:  global
        .offset:         8
        .size:           8
        .value_kind:     global_buffer
      - .actual_access:  read_only
        .address_space:  global
        .offset:         16
        .size:           8
        .value_kind:     global_buffer
      - .actual_access:  read_only
        .address_space:  global
        .offset:         24
        .size:           8
        .value_kind:     global_buffer
      - .actual_access:  write_only
        .address_space:  global
        .offset:         32
        .size:           8
        .value_kind:     global_buffer
      - .actual_access:  write_only
        .address_space:  global
        .offset:         40
        .size:           8
        .value_kind:     global_buffer
    .group_segment_fixed_size: 0
    .kernarg_segment_align: 8
    .kernarg_segment_size: 48
    .language:       OpenCL C
    .language_version:
      - 2
      - 0
    .max_flat_workgroup_size: 512
    .name:           _ZN9rocsparseL22csr2csc_permute_kernelILj512EilhEEvT0_PKT1_PKT2_PKS1_PS2_PS5_
    .private_segment_fixed_size: 0
    .sgpr_count:     14
    .sgpr_spill_count: 0
    .symbol:         _ZN9rocsparseL22csr2csc_permute_kernelILj512EilhEEvT0_PKT1_PKT2_PKS1_PS2_PS5_.kd
    .uniform_work_group_size: 1
    .uses_dynamic_stack: false
    .vgpr_count:     5
    .vgpr_spill_count: 0
    .wavefront_size: 32
  - .args:
      - .offset:         0
        .size:           8
        .value_kind:     by_value
      - .actual_access:  read_only
        .address_space:  global
        .offset:         8
        .size:           8
        .value_kind:     global_buffer
      - .actual_access:  read_only
        .address_space:  global
        .offset:         16
        .size:           8
        .value_kind:     global_buffer
      - .actual_access:  read_only
        .address_space:  global
        .offset:         24
        .size:           8
        .value_kind:     global_buffer
      - .actual_access:  write_only
        .address_space:  global
        .offset:         32
        .size:           8
        .value_kind:     global_buffer
      - .actual_access:  write_only
        .address_space:  global
        .offset:         40
        .size:           8
        .value_kind:     global_buffer
    .group_segment_fixed_size: 0
    .kernarg_segment_align: 8
    .kernarg_segment_size: 48
    .language:       OpenCL C
    .language_version:
      - 2
      - 0
    .max_flat_workgroup_size: 512
    .name:           _ZN9rocsparseL22csr2csc_permute_kernelILj512EllhEEvT0_PKT1_PKT2_PKS1_PS2_PS5_
    .private_segment_fixed_size: 0
    .sgpr_count:     14
    .sgpr_spill_count: 0
    .symbol:         _ZN9rocsparseL22csr2csc_permute_kernelILj512EllhEEvT0_PKT1_PKT2_PKS1_PS2_PS5_.kd
    .uniform_work_group_size: 1
    .uses_dynamic_stack: false
    .vgpr_count:     11
    .vgpr_spill_count: 0
    .wavefront_size: 32
  - .args:
      - .offset:         0
        .size:           4
        .value_kind:     by_value
      - .actual_access:  read_only
        .address_space:  global
        .offset:         8
        .size:           8
        .value_kind:     global_buffer
      - .actual_access:  read_only
        .address_space:  global
        .offset:         16
        .size:           8
        .value_kind:     global_buffer
      - .actual_access:  read_only
        .address_space:  global
        .offset:         24
        .size:           8
        .value_kind:     global_buffer
      - .actual_access:  write_only
        .address_space:  global
        .offset:         32
        .size:           8
        .value_kind:     global_buffer
      - .actual_access:  write_only
        .address_space:  global
        .offset:         40
        .size:           8
        .value_kind:     global_buffer
    .group_segment_fixed_size: 0
    .kernarg_segment_align: 8
    .kernarg_segment_size: 48
    .language:       OpenCL C
    .language_version:
      - 2
      - 0
    .max_flat_workgroup_size: 512
    .name:           _ZN9rocsparseL22csr2csc_permute_kernelILj512EiijEEvT0_PKT1_PKT2_PKS1_PS2_PS5_
    .private_segment_fixed_size: 0
    .sgpr_count:     14
    .sgpr_spill_count: 0
    .symbol:         _ZN9rocsparseL22csr2csc_permute_kernelILj512EiijEEvT0_PKT1_PKT2_PKS1_PS2_PS5_.kd
    .uniform_work_group_size: 1
    .uses_dynamic_stack: false
    .vgpr_count:     4
    .vgpr_spill_count: 0
    .wavefront_size: 32
  - .args:
      - .offset:         0
        .size:           8
        .value_kind:     by_value
      - .actual_access:  read_only
        .address_space:  global
        .offset:         8
        .size:           8
        .value_kind:     global_buffer
      - .actual_access:  read_only
        .address_space:  global
        .offset:         16
        .size:           8
        .value_kind:     global_buffer
      - .actual_access:  read_only
        .address_space:  global
        .offset:         24
        .size:           8
        .value_kind:     global_buffer
      - .actual_access:  write_only
        .address_space:  global
        .offset:         32
        .size:           8
        .value_kind:     global_buffer
      - .actual_access:  write_only
        .address_space:  global
        .offset:         40
        .size:           8
        .value_kind:     global_buffer
    .group_segment_fixed_size: 0
    .kernarg_segment_align: 8
    .kernarg_segment_size: 48
    .language:       OpenCL C
    .language_version:
      - 2
      - 0
    .max_flat_workgroup_size: 512
    .name:           _ZN9rocsparseL22csr2csc_permute_kernelILj512ElijEEvT0_PKT1_PKT2_PKS1_PS2_PS5_
    .private_segment_fixed_size: 0
    .sgpr_count:     14
    .sgpr_spill_count: 0
    .symbol:         _ZN9rocsparseL22csr2csc_permute_kernelILj512ElijEEvT0_PKT1_PKT2_PKS1_PS2_PS5_.kd
    .uniform_work_group_size: 1
    .uses_dynamic_stack: false
    .vgpr_count:     8
    .vgpr_spill_count: 0
    .wavefront_size: 32
  - .args:
      - .offset:         0
        .size:           4
        .value_kind:     by_value
      - .actual_access:  read_only
        .address_space:  global
        .offset:         8
        .size:           8
        .value_kind:     global_buffer
      - .actual_access:  read_only
        .address_space:  global
        .offset:         16
        .size:           8
        .value_kind:     global_buffer
      - .actual_access:  read_only
        .address_space:  global
        .offset:         24
        .size:           8
        .value_kind:     global_buffer
      - .actual_access:  write_only
        .address_space:  global
        .offset:         32
        .size:           8
        .value_kind:     global_buffer
      - .actual_access:  write_only
        .address_space:  global
        .offset:         40
        .size:           8
        .value_kind:     global_buffer
    .group_segment_fixed_size: 0
    .kernarg_segment_align: 8
    .kernarg_segment_size: 48
    .language:       OpenCL C
    .language_version:
      - 2
      - 0
    .max_flat_workgroup_size: 512
    .name:           _ZN9rocsparseL22csr2csc_permute_kernelILj512EiljEEvT0_PKT1_PKT2_PKS1_PS2_PS5_
    .private_segment_fixed_size: 0
    .sgpr_count:     14
    .sgpr_spill_count: 0
    .symbol:         _ZN9rocsparseL22csr2csc_permute_kernelILj512EiljEEvT0_PKT1_PKT2_PKS1_PS2_PS5_.kd
    .uniform_work_group_size: 1
    .uses_dynamic_stack: false
    .vgpr_count:     5
    .vgpr_spill_count: 0
    .wavefront_size: 32
  - .args:
      - .offset:         0
        .size:           8
        .value_kind:     by_value
      - .actual_access:  read_only
        .address_space:  global
        .offset:         8
        .size:           8
        .value_kind:     global_buffer
      - .actual_access:  read_only
        .address_space:  global
        .offset:         16
        .size:           8
        .value_kind:     global_buffer
      - .actual_access:  read_only
        .address_space:  global
        .offset:         24
        .size:           8
        .value_kind:     global_buffer
      - .actual_access:  write_only
        .address_space:  global
        .offset:         32
        .size:           8
        .value_kind:     global_buffer
      - .actual_access:  write_only
        .address_space:  global
        .offset:         40
        .size:           8
        .value_kind:     global_buffer
    .group_segment_fixed_size: 0
    .kernarg_segment_align: 8
    .kernarg_segment_size: 48
    .language:       OpenCL C
    .language_version:
      - 2
      - 0
    .max_flat_workgroup_size: 512
    .name:           _ZN9rocsparseL22csr2csc_permute_kernelILj512ElljEEvT0_PKT1_PKT2_PKS1_PS2_PS5_
    .private_segment_fixed_size: 0
    .sgpr_count:     14
    .sgpr_spill_count: 0
    .symbol:         _ZN9rocsparseL22csr2csc_permute_kernelILj512ElljEEvT0_PKT1_PKT2_PKS1_PS2_PS5_.kd
    .uniform_work_group_size: 1
    .uses_dynamic_stack: false
    .vgpr_count:     11
    .vgpr_spill_count: 0
    .wavefront_size: 32
  - .args:
      - .offset:         0
        .size:           4
        .value_kind:     by_value
      - .actual_access:  read_only
        .address_space:  global
        .offset:         8
        .size:           8
        .value_kind:     global_buffer
      - .actual_access:  read_only
        .address_space:  global
        .offset:         16
        .size:           8
        .value_kind:     global_buffer
      - .actual_access:  read_only
        .address_space:  global
        .offset:         24
        .size:           8
        .value_kind:     global_buffer
      - .actual_access:  write_only
        .address_space:  global
        .offset:         32
        .size:           8
        .value_kind:     global_buffer
      - .actual_access:  write_only
        .address_space:  global
        .offset:         40
        .size:           8
        .value_kind:     global_buffer
    .group_segment_fixed_size: 0
    .kernarg_segment_align: 8
    .kernarg_segment_size: 48
    .language:       OpenCL C
    .language_version:
      - 2
      - 0
    .max_flat_workgroup_size: 512
    .name:           _ZN9rocsparseL22csr2csc_permute_kernelILj512EiiiEEvT0_PKT1_PKT2_PKS1_PS2_PS5_
    .private_segment_fixed_size: 0
    .sgpr_count:     14
    .sgpr_spill_count: 0
    .symbol:         _ZN9rocsparseL22csr2csc_permute_kernelILj512EiiiEEvT0_PKT1_PKT2_PKS1_PS2_PS5_.kd
    .uniform_work_group_size: 1
    .uses_dynamic_stack: false
    .vgpr_count:     4
    .vgpr_spill_count: 0
    .wavefront_size: 32
  - .args:
      - .offset:         0
        .size:           8
        .value_kind:     by_value
      - .actual_access:  read_only
        .address_space:  global
        .offset:         8
        .size:           8
        .value_kind:     global_buffer
      - .actual_access:  read_only
        .address_space:  global
        .offset:         16
        .size:           8
        .value_kind:     global_buffer
      - .actual_access:  read_only
        .address_space:  global
        .offset:         24
        .size:           8
        .value_kind:     global_buffer
      - .actual_access:  write_only
        .address_space:  global
        .offset:         32
        .size:           8
        .value_kind:     global_buffer
      - .actual_access:  write_only
        .address_space:  global
        .offset:         40
        .size:           8
        .value_kind:     global_buffer
    .group_segment_fixed_size: 0
    .kernarg_segment_align: 8
    .kernarg_segment_size: 48
    .language:       OpenCL C
    .language_version:
      - 2
      - 0
    .max_flat_workgroup_size: 512
    .name:           _ZN9rocsparseL22csr2csc_permute_kernelILj512EliiEEvT0_PKT1_PKT2_PKS1_PS2_PS5_
    .private_segment_fixed_size: 0
    .sgpr_count:     14
    .sgpr_spill_count: 0
    .symbol:         _ZN9rocsparseL22csr2csc_permute_kernelILj512EliiEEvT0_PKT1_PKT2_PKS1_PS2_PS5_.kd
    .uniform_work_group_size: 1
    .uses_dynamic_stack: false
    .vgpr_count:     8
    .vgpr_spill_count: 0
    .wavefront_size: 32
  - .args:
      - .offset:         0
        .size:           4
        .value_kind:     by_value
      - .actual_access:  read_only
        .address_space:  global
        .offset:         8
        .size:           8
        .value_kind:     global_buffer
      - .actual_access:  read_only
        .address_space:  global
        .offset:         16
        .size:           8
        .value_kind:     global_buffer
      - .actual_access:  read_only
        .address_space:  global
        .offset:         24
        .size:           8
        .value_kind:     global_buffer
      - .actual_access:  write_only
        .address_space:  global
        .offset:         32
        .size:           8
        .value_kind:     global_buffer
      - .actual_access:  write_only
        .address_space:  global
        .offset:         40
        .size:           8
        .value_kind:     global_buffer
    .group_segment_fixed_size: 0
    .kernarg_segment_align: 8
    .kernarg_segment_size: 48
    .language:       OpenCL C
    .language_version:
      - 2
      - 0
    .max_flat_workgroup_size: 512
    .name:           _ZN9rocsparseL22csr2csc_permute_kernelILj512EiliEEvT0_PKT1_PKT2_PKS1_PS2_PS5_
    .private_segment_fixed_size: 0
    .sgpr_count:     14
    .sgpr_spill_count: 0
    .symbol:         _ZN9rocsparseL22csr2csc_permute_kernelILj512EiliEEvT0_PKT1_PKT2_PKS1_PS2_PS5_.kd
    .uniform_work_group_size: 1
    .uses_dynamic_stack: false
    .vgpr_count:     5
    .vgpr_spill_count: 0
    .wavefront_size: 32
  - .args:
      - .offset:         0
        .size:           8
        .value_kind:     by_value
      - .actual_access:  read_only
        .address_space:  global
        .offset:         8
        .size:           8
        .value_kind:     global_buffer
      - .actual_access:  read_only
        .address_space:  global
        .offset:         16
        .size:           8
        .value_kind:     global_buffer
      - .actual_access:  read_only
        .address_space:  global
        .offset:         24
        .size:           8
        .value_kind:     global_buffer
      - .actual_access:  write_only
        .address_space:  global
        .offset:         32
        .size:           8
        .value_kind:     global_buffer
      - .actual_access:  write_only
        .address_space:  global
        .offset:         40
        .size:           8
        .value_kind:     global_buffer
    .group_segment_fixed_size: 0
    .kernarg_segment_align: 8
    .kernarg_segment_size: 48
    .language:       OpenCL C
    .language_version:
      - 2
      - 0
    .max_flat_workgroup_size: 512
    .name:           _ZN9rocsparseL22csr2csc_permute_kernelILj512ElliEEvT0_PKT1_PKT2_PKS1_PS2_PS5_
    .private_segment_fixed_size: 0
    .sgpr_count:     14
    .sgpr_spill_count: 0
    .symbol:         _ZN9rocsparseL22csr2csc_permute_kernelILj512ElliEEvT0_PKT1_PKT2_PKS1_PS2_PS5_.kd
    .uniform_work_group_size: 1
    .uses_dynamic_stack: false
    .vgpr_count:     11
    .vgpr_spill_count: 0
    .wavefront_size: 32
  - .args:
      - .offset:         0
        .size:           4
        .value_kind:     by_value
      - .actual_access:  read_only
        .address_space:  global
        .offset:         8
        .size:           8
        .value_kind:     global_buffer
      - .actual_access:  read_only
        .address_space:  global
        .offset:         16
        .size:           8
        .value_kind:     global_buffer
      - .actual_access:  read_only
        .address_space:  global
        .offset:         24
        .size:           8
        .value_kind:     global_buffer
      - .actual_access:  write_only
        .address_space:  global
        .offset:         32
        .size:           8
        .value_kind:     global_buffer
      - .actual_access:  write_only
        .address_space:  global
        .offset:         40
        .size:           8
        .value_kind:     global_buffer
    .group_segment_fixed_size: 0
    .kernarg_segment_align: 8
    .kernarg_segment_size: 48
    .language:       OpenCL C
    .language_version:
      - 2
      - 0
    .max_flat_workgroup_size: 512
    .name:           _ZN9rocsparseL22csr2csc_permute_kernelILj512EiilEEvT0_PKT1_PKT2_PKS1_PS2_PS5_
    .private_segment_fixed_size: 0
    .sgpr_count:     14
    .sgpr_spill_count: 0
    .symbol:         _ZN9rocsparseL22csr2csc_permute_kernelILj512EiilEEvT0_PKT1_PKT2_PKS1_PS2_PS5_.kd
    .uniform_work_group_size: 1
    .uses_dynamic_stack: false
    .vgpr_count:     5
    .vgpr_spill_count: 0
    .wavefront_size: 32
  - .args:
      - .offset:         0
        .size:           8
        .value_kind:     by_value
      - .actual_access:  read_only
        .address_space:  global
        .offset:         8
        .size:           8
        .value_kind:     global_buffer
      - .actual_access:  read_only
        .address_space:  global
        .offset:         16
        .size:           8
        .value_kind:     global_buffer
      - .actual_access:  read_only
        .address_space:  global
        .offset:         24
        .size:           8
        .value_kind:     global_buffer
      - .actual_access:  write_only
        .address_space:  global
        .offset:         32
        .size:           8
        .value_kind:     global_buffer
      - .actual_access:  write_only
        .address_space:  global
        .offset:         40
        .size:           8
        .value_kind:     global_buffer
    .group_segment_fixed_size: 0
    .kernarg_segment_align: 8
    .kernarg_segment_size: 48
    .language:       OpenCL C
    .language_version:
      - 2
      - 0
    .max_flat_workgroup_size: 512
    .name:           _ZN9rocsparseL22csr2csc_permute_kernelILj512ElilEEvT0_PKT1_PKT2_PKS1_PS2_PS5_
    .private_segment_fixed_size: 0
    .sgpr_count:     14
    .sgpr_spill_count: 0
    .symbol:         _ZN9rocsparseL22csr2csc_permute_kernelILj512ElilEEvT0_PKT1_PKT2_PKS1_PS2_PS5_.kd
    .uniform_work_group_size: 1
    .uses_dynamic_stack: false
    .vgpr_count:     11
    .vgpr_spill_count: 0
    .wavefront_size: 32
  - .args:
      - .offset:         0
        .size:           4
        .value_kind:     by_value
      - .actual_access:  read_only
        .address_space:  global
        .offset:         8
        .size:           8
        .value_kind:     global_buffer
      - .actual_access:  read_only
        .address_space:  global
        .offset:         16
        .size:           8
        .value_kind:     global_buffer
      - .actual_access:  read_only
        .address_space:  global
        .offset:         24
        .size:           8
        .value_kind:     global_buffer
      - .actual_access:  write_only
        .address_space:  global
        .offset:         32
        .size:           8
        .value_kind:     global_buffer
      - .actual_access:  write_only
        .address_space:  global
        .offset:         40
        .size:           8
        .value_kind:     global_buffer
    .group_segment_fixed_size: 0
    .kernarg_segment_align: 8
    .kernarg_segment_size: 48
    .language:       OpenCL C
    .language_version:
      - 2
      - 0
    .max_flat_workgroup_size: 512
    .name:           _ZN9rocsparseL22csr2csc_permute_kernelILj512EillEEvT0_PKT1_PKT2_PKS1_PS2_PS5_
    .private_segment_fixed_size: 0
    .sgpr_count:     14
    .sgpr_spill_count: 0
    .symbol:         _ZN9rocsparseL22csr2csc_permute_kernelILj512EillEEvT0_PKT1_PKT2_PKS1_PS2_PS5_.kd
    .uniform_work_group_size: 1
    .uses_dynamic_stack: false
    .vgpr_count:     6
    .vgpr_spill_count: 0
    .wavefront_size: 32
  - .args:
      - .offset:         0
        .size:           8
        .value_kind:     by_value
      - .actual_access:  read_only
        .address_space:  global
        .offset:         8
        .size:           8
        .value_kind:     global_buffer
      - .actual_access:  read_only
        .address_space:  global
        .offset:         16
        .size:           8
        .value_kind:     global_buffer
      - .actual_access:  read_only
        .address_space:  global
        .offset:         24
        .size:           8
        .value_kind:     global_buffer
      - .actual_access:  write_only
        .address_space:  global
        .offset:         32
        .size:           8
        .value_kind:     global_buffer
      - .actual_access:  write_only
        .address_space:  global
        .offset:         40
        .size:           8
        .value_kind:     global_buffer
    .group_segment_fixed_size: 0
    .kernarg_segment_align: 8
    .kernarg_segment_size: 48
    .language:       OpenCL C
    .language_version:
      - 2
      - 0
    .max_flat_workgroup_size: 512
    .name:           _ZN9rocsparseL22csr2csc_permute_kernelILj512ElllEEvT0_PKT1_PKT2_PKS1_PS2_PS5_
    .private_segment_fixed_size: 0
    .sgpr_count:     14
    .sgpr_spill_count: 0
    .symbol:         _ZN9rocsparseL22csr2csc_permute_kernelILj512ElllEEvT0_PKT1_PKT2_PKS1_PS2_PS5_.kd
    .uniform_work_group_size: 1
    .uses_dynamic_stack: false
    .vgpr_count:     10
    .vgpr_spill_count: 0
    .wavefront_size: 32
  - .args:
      - .offset:         0
        .size:           4
        .value_kind:     by_value
      - .actual_access:  read_only
        .address_space:  global
        .offset:         8
        .size:           8
        .value_kind:     global_buffer
      - .actual_access:  read_only
        .address_space:  global
        .offset:         16
        .size:           8
        .value_kind:     global_buffer
      - .actual_access:  read_only
        .address_space:  global
        .offset:         24
        .size:           8
        .value_kind:     global_buffer
      - .actual_access:  write_only
        .address_space:  global
        .offset:         32
        .size:           8
        .value_kind:     global_buffer
      - .actual_access:  write_only
        .address_space:  global
        .offset:         40
        .size:           8
        .value_kind:     global_buffer
    .group_segment_fixed_size: 0
    .kernarg_segment_align: 8
    .kernarg_segment_size: 48
    .language:       OpenCL C
    .language_version:
      - 2
      - 0
    .max_flat_workgroup_size: 512
    .name:           _ZN9rocsparseL22csr2csc_permute_kernelILj512EiifEEvT0_PKT1_PKT2_PKS1_PS2_PS5_
    .private_segment_fixed_size: 0
    .sgpr_count:     14
    .sgpr_spill_count: 0
    .symbol:         _ZN9rocsparseL22csr2csc_permute_kernelILj512EiifEEvT0_PKT1_PKT2_PKS1_PS2_PS5_.kd
    .uniform_work_group_size: 1
    .uses_dynamic_stack: false
    .vgpr_count:     4
    .vgpr_spill_count: 0
    .wavefront_size: 32
  - .args:
      - .offset:         0
        .size:           8
        .value_kind:     by_value
      - .actual_access:  read_only
        .address_space:  global
        .offset:         8
        .size:           8
        .value_kind:     global_buffer
      - .actual_access:  read_only
        .address_space:  global
        .offset:         16
        .size:           8
        .value_kind:     global_buffer
      - .actual_access:  read_only
        .address_space:  global
        .offset:         24
        .size:           8
        .value_kind:     global_buffer
      - .actual_access:  write_only
        .address_space:  global
        .offset:         32
        .size:           8
        .value_kind:     global_buffer
      - .actual_access:  write_only
        .address_space:  global
        .offset:         40
        .size:           8
        .value_kind:     global_buffer
    .group_segment_fixed_size: 0
    .kernarg_segment_align: 8
    .kernarg_segment_size: 48
    .language:       OpenCL C
    .language_version:
      - 2
      - 0
    .max_flat_workgroup_size: 512
    .name:           _ZN9rocsparseL22csr2csc_permute_kernelILj512ElifEEvT0_PKT1_PKT2_PKS1_PS2_PS5_
    .private_segment_fixed_size: 0
    .sgpr_count:     14
    .sgpr_spill_count: 0
    .symbol:         _ZN9rocsparseL22csr2csc_permute_kernelILj512ElifEEvT0_PKT1_PKT2_PKS1_PS2_PS5_.kd
    .uniform_work_group_size: 1
    .uses_dynamic_stack: false
    .vgpr_count:     8
    .vgpr_spill_count: 0
    .wavefront_size: 32
  - .args:
      - .offset:         0
        .size:           4
        .value_kind:     by_value
      - .actual_access:  read_only
        .address_space:  global
        .offset:         8
        .size:           8
        .value_kind:     global_buffer
      - .actual_access:  read_only
        .address_space:  global
        .offset:         16
        .size:           8
        .value_kind:     global_buffer
      - .actual_access:  read_only
        .address_space:  global
        .offset:         24
        .size:           8
        .value_kind:     global_buffer
      - .actual_access:  write_only
        .address_space:  global
        .offset:         32
        .size:           8
        .value_kind:     global_buffer
      - .actual_access:  write_only
        .address_space:  global
        .offset:         40
        .size:           8
        .value_kind:     global_buffer
    .group_segment_fixed_size: 0
    .kernarg_segment_align: 8
    .kernarg_segment_size: 48
    .language:       OpenCL C
    .language_version:
      - 2
      - 0
    .max_flat_workgroup_size: 512
    .name:           _ZN9rocsparseL22csr2csc_permute_kernelILj512EilfEEvT0_PKT1_PKT2_PKS1_PS2_PS5_
    .private_segment_fixed_size: 0
    .sgpr_count:     14
    .sgpr_spill_count: 0
    .symbol:         _ZN9rocsparseL22csr2csc_permute_kernelILj512EilfEEvT0_PKT1_PKT2_PKS1_PS2_PS5_.kd
    .uniform_work_group_size: 1
    .uses_dynamic_stack: false
    .vgpr_count:     5
    .vgpr_spill_count: 0
    .wavefront_size: 32
  - .args:
      - .offset:         0
        .size:           8
        .value_kind:     by_value
      - .actual_access:  read_only
        .address_space:  global
        .offset:         8
        .size:           8
        .value_kind:     global_buffer
      - .actual_access:  read_only
        .address_space:  global
        .offset:         16
        .size:           8
        .value_kind:     global_buffer
      - .actual_access:  read_only
        .address_space:  global
        .offset:         24
        .size:           8
        .value_kind:     global_buffer
      - .actual_access:  write_only
        .address_space:  global
        .offset:         32
        .size:           8
        .value_kind:     global_buffer
      - .actual_access:  write_only
        .address_space:  global
        .offset:         40
        .size:           8
        .value_kind:     global_buffer
    .group_segment_fixed_size: 0
    .kernarg_segment_align: 8
    .kernarg_segment_size: 48
    .language:       OpenCL C
    .language_version:
      - 2
      - 0
    .max_flat_workgroup_size: 512
    .name:           _ZN9rocsparseL22csr2csc_permute_kernelILj512EllfEEvT0_PKT1_PKT2_PKS1_PS2_PS5_
    .private_segment_fixed_size: 0
    .sgpr_count:     14
    .sgpr_spill_count: 0
    .symbol:         _ZN9rocsparseL22csr2csc_permute_kernelILj512EllfEEvT0_PKT1_PKT2_PKS1_PS2_PS5_.kd
    .uniform_work_group_size: 1
    .uses_dynamic_stack: false
    .vgpr_count:     11
    .vgpr_spill_count: 0
    .wavefront_size: 32
  - .args:
      - .offset:         0
        .size:           4
        .value_kind:     by_value
      - .actual_access:  read_only
        .address_space:  global
        .offset:         8
        .size:           8
        .value_kind:     global_buffer
      - .actual_access:  read_only
        .address_space:  global
        .offset:         16
        .size:           8
        .value_kind:     global_buffer
      - .actual_access:  read_only
        .address_space:  global
        .offset:         24
        .size:           8
        .value_kind:     global_buffer
      - .actual_access:  write_only
        .address_space:  global
        .offset:         32
        .size:           8
        .value_kind:     global_buffer
      - .actual_access:  write_only
        .address_space:  global
        .offset:         40
        .size:           8
        .value_kind:     global_buffer
    .group_segment_fixed_size: 0
    .kernarg_segment_align: 8
    .kernarg_segment_size: 48
    .language:       OpenCL C
    .language_version:
      - 2
      - 0
    .max_flat_workgroup_size: 512
    .name:           _ZN9rocsparseL22csr2csc_permute_kernelILj512EiidEEvT0_PKT1_PKT2_PKS1_PS2_PS5_
    .private_segment_fixed_size: 0
    .sgpr_count:     14
    .sgpr_spill_count: 0
    .symbol:         _ZN9rocsparseL22csr2csc_permute_kernelILj512EiidEEvT0_PKT1_PKT2_PKS1_PS2_PS5_.kd
    .uniform_work_group_size: 1
    .uses_dynamic_stack: false
    .vgpr_count:     5
    .vgpr_spill_count: 0
    .wavefront_size: 32
  - .args:
      - .offset:         0
        .size:           8
        .value_kind:     by_value
      - .actual_access:  read_only
        .address_space:  global
        .offset:         8
        .size:           8
        .value_kind:     global_buffer
      - .actual_access:  read_only
        .address_space:  global
        .offset:         16
        .size:           8
        .value_kind:     global_buffer
      - .actual_access:  read_only
        .address_space:  global
        .offset:         24
        .size:           8
        .value_kind:     global_buffer
      - .actual_access:  write_only
        .address_space:  global
        .offset:         32
        .size:           8
        .value_kind:     global_buffer
      - .actual_access:  write_only
        .address_space:  global
        .offset:         40
        .size:           8
        .value_kind:     global_buffer
    .group_segment_fixed_size: 0
    .kernarg_segment_align: 8
    .kernarg_segment_size: 48
    .language:       OpenCL C
    .language_version:
      - 2
      - 0
    .max_flat_workgroup_size: 512
    .name:           _ZN9rocsparseL22csr2csc_permute_kernelILj512ElidEEvT0_PKT1_PKT2_PKS1_PS2_PS5_
    .private_segment_fixed_size: 0
    .sgpr_count:     14
    .sgpr_spill_count: 0
    .symbol:         _ZN9rocsparseL22csr2csc_permute_kernelILj512ElidEEvT0_PKT1_PKT2_PKS1_PS2_PS5_.kd
    .uniform_work_group_size: 1
    .uses_dynamic_stack: false
    .vgpr_count:     11
    .vgpr_spill_count: 0
    .wavefront_size: 32
  - .args:
      - .offset:         0
        .size:           4
        .value_kind:     by_value
      - .actual_access:  read_only
        .address_space:  global
        .offset:         8
        .size:           8
        .value_kind:     global_buffer
      - .actual_access:  read_only
        .address_space:  global
        .offset:         16
        .size:           8
        .value_kind:     global_buffer
      - .actual_access:  read_only
        .address_space:  global
        .offset:         24
        .size:           8
        .value_kind:     global_buffer
      - .actual_access:  write_only
        .address_space:  global
        .offset:         32
        .size:           8
        .value_kind:     global_buffer
      - .actual_access:  write_only
        .address_space:  global
        .offset:         40
        .size:           8
        .value_kind:     global_buffer
    .group_segment_fixed_size: 0
    .kernarg_segment_align: 8
    .kernarg_segment_size: 48
    .language:       OpenCL C
    .language_version:
      - 2
      - 0
    .max_flat_workgroup_size: 512
    .name:           _ZN9rocsparseL22csr2csc_permute_kernelILj512EildEEvT0_PKT1_PKT2_PKS1_PS2_PS5_
    .private_segment_fixed_size: 0
    .sgpr_count:     14
    .sgpr_spill_count: 0
    .symbol:         _ZN9rocsparseL22csr2csc_permute_kernelILj512EildEEvT0_PKT1_PKT2_PKS1_PS2_PS5_.kd
    .uniform_work_group_size: 1
    .uses_dynamic_stack: false
    .vgpr_count:     6
    .vgpr_spill_count: 0
    .wavefront_size: 32
  - .args:
      - .offset:         0
        .size:           8
        .value_kind:     by_value
      - .actual_access:  read_only
        .address_space:  global
        .offset:         8
        .size:           8
        .value_kind:     global_buffer
      - .actual_access:  read_only
        .address_space:  global
        .offset:         16
        .size:           8
        .value_kind:     global_buffer
      - .actual_access:  read_only
        .address_space:  global
        .offset:         24
        .size:           8
        .value_kind:     global_buffer
      - .actual_access:  write_only
        .address_space:  global
        .offset:         32
        .size:           8
        .value_kind:     global_buffer
      - .actual_access:  write_only
        .address_space:  global
        .offset:         40
        .size:           8
        .value_kind:     global_buffer
    .group_segment_fixed_size: 0
    .kernarg_segment_align: 8
    .kernarg_segment_size: 48
    .language:       OpenCL C
    .language_version:
      - 2
      - 0
    .max_flat_workgroup_size: 512
    .name:           _ZN9rocsparseL22csr2csc_permute_kernelILj512ElldEEvT0_PKT1_PKT2_PKS1_PS2_PS5_
    .private_segment_fixed_size: 0
    .sgpr_count:     14
    .sgpr_spill_count: 0
    .symbol:         _ZN9rocsparseL22csr2csc_permute_kernelILj512ElldEEvT0_PKT1_PKT2_PKS1_PS2_PS5_.kd
    .uniform_work_group_size: 1
    .uses_dynamic_stack: false
    .vgpr_count:     10
    .vgpr_spill_count: 0
    .wavefront_size: 32
  - .args:
      - .offset:         0
        .size:           4
        .value_kind:     by_value
      - .actual_access:  read_only
        .address_space:  global
        .offset:         8
        .size:           8
        .value_kind:     global_buffer
      - .actual_access:  read_only
        .address_space:  global
        .offset:         16
        .size:           8
        .value_kind:     global_buffer
      - .actual_access:  read_only
        .address_space:  global
        .offset:         24
        .size:           8
        .value_kind:     global_buffer
      - .actual_access:  write_only
        .address_space:  global
        .offset:         32
        .size:           8
        .value_kind:     global_buffer
      - .actual_access:  write_only
        .address_space:  global
        .offset:         40
        .size:           8
        .value_kind:     global_buffer
    .group_segment_fixed_size: 0
    .kernarg_segment_align: 8
    .kernarg_segment_size: 48
    .language:       OpenCL C
    .language_version:
      - 2
      - 0
    .max_flat_workgroup_size: 512
    .name:           _ZN9rocsparseL22csr2csc_permute_kernelILj512Eii21rocsparse_complex_numIfEEEvT0_PKT1_PKT2_PKS3_PS4_PS7_
    .private_segment_fixed_size: 0
    .sgpr_count:     14
    .sgpr_spill_count: 0
    .symbol:         _ZN9rocsparseL22csr2csc_permute_kernelILj512Eii21rocsparse_complex_numIfEEEvT0_PKT1_PKT2_PKS3_PS4_PS7_.kd
    .uniform_work_group_size: 1
    .uses_dynamic_stack: false
    .vgpr_count:     5
    .vgpr_spill_count: 0
    .wavefront_size: 32
  - .args:
      - .offset:         0
        .size:           8
        .value_kind:     by_value
      - .actual_access:  read_only
        .address_space:  global
        .offset:         8
        .size:           8
        .value_kind:     global_buffer
      - .actual_access:  read_only
        .address_space:  global
        .offset:         16
        .size:           8
        .value_kind:     global_buffer
      - .actual_access:  read_only
        .address_space:  global
        .offset:         24
        .size:           8
        .value_kind:     global_buffer
      - .actual_access:  write_only
        .address_space:  global
        .offset:         32
        .size:           8
        .value_kind:     global_buffer
      - .actual_access:  write_only
        .address_space:  global
        .offset:         40
        .size:           8
        .value_kind:     global_buffer
    .group_segment_fixed_size: 0
    .kernarg_segment_align: 8
    .kernarg_segment_size: 48
    .language:       OpenCL C
    .language_version:
      - 2
      - 0
    .max_flat_workgroup_size: 512
    .name:           _ZN9rocsparseL22csr2csc_permute_kernelILj512Eli21rocsparse_complex_numIfEEEvT0_PKT1_PKT2_PKS3_PS4_PS7_
    .private_segment_fixed_size: 0
    .sgpr_count:     14
    .sgpr_spill_count: 0
    .symbol:         _ZN9rocsparseL22csr2csc_permute_kernelILj512Eli21rocsparse_complex_numIfEEEvT0_PKT1_PKT2_PKS3_PS4_PS7_.kd
    .uniform_work_group_size: 1
    .uses_dynamic_stack: false
    .vgpr_count:     11
    .vgpr_spill_count: 0
    .wavefront_size: 32
  - .args:
      - .offset:         0
        .size:           4
        .value_kind:     by_value
      - .actual_access:  read_only
        .address_space:  global
        .offset:         8
        .size:           8
        .value_kind:     global_buffer
      - .actual_access:  read_only
        .address_space:  global
        .offset:         16
        .size:           8
        .value_kind:     global_buffer
      - .actual_access:  read_only
        .address_space:  global
        .offset:         24
        .size:           8
        .value_kind:     global_buffer
      - .actual_access:  write_only
        .address_space:  global
        .offset:         32
        .size:           8
        .value_kind:     global_buffer
      - .actual_access:  write_only
        .address_space:  global
        .offset:         40
        .size:           8
        .value_kind:     global_buffer
    .group_segment_fixed_size: 0
    .kernarg_segment_align: 8
    .kernarg_segment_size: 48
    .language:       OpenCL C
    .language_version:
      - 2
      - 0
    .max_flat_workgroup_size: 512
    .name:           _ZN9rocsparseL22csr2csc_permute_kernelILj512Eil21rocsparse_complex_numIfEEEvT0_PKT1_PKT2_PKS3_PS4_PS7_
    .private_segment_fixed_size: 0
    .sgpr_count:     14
    .sgpr_spill_count: 0
    .symbol:         _ZN9rocsparseL22csr2csc_permute_kernelILj512Eil21rocsparse_complex_numIfEEEvT0_PKT1_PKT2_PKS3_PS4_PS7_.kd
    .uniform_work_group_size: 1
    .uses_dynamic_stack: false
    .vgpr_count:     6
    .vgpr_spill_count: 0
    .wavefront_size: 32
  - .args:
      - .offset:         0
        .size:           8
        .value_kind:     by_value
      - .actual_access:  read_only
        .address_space:  global
        .offset:         8
        .size:           8
        .value_kind:     global_buffer
      - .actual_access:  read_only
        .address_space:  global
        .offset:         16
        .size:           8
        .value_kind:     global_buffer
      - .actual_access:  read_only
        .address_space:  global
        .offset:         24
        .size:           8
        .value_kind:     global_buffer
      - .actual_access:  write_only
        .address_space:  global
        .offset:         32
        .size:           8
        .value_kind:     global_buffer
      - .actual_access:  write_only
        .address_space:  global
        .offset:         40
        .size:           8
        .value_kind:     global_buffer
    .group_segment_fixed_size: 0
    .kernarg_segment_align: 8
    .kernarg_segment_size: 48
    .language:       OpenCL C
    .language_version:
      - 2
      - 0
    .max_flat_workgroup_size: 512
    .name:           _ZN9rocsparseL22csr2csc_permute_kernelILj512Ell21rocsparse_complex_numIfEEEvT0_PKT1_PKT2_PKS3_PS4_PS7_
    .private_segment_fixed_size: 0
    .sgpr_count:     14
    .sgpr_spill_count: 0
    .symbol:         _ZN9rocsparseL22csr2csc_permute_kernelILj512Ell21rocsparse_complex_numIfEEEvT0_PKT1_PKT2_PKS3_PS4_PS7_.kd
    .uniform_work_group_size: 1
    .uses_dynamic_stack: false
    .vgpr_count:     10
    .vgpr_spill_count: 0
    .wavefront_size: 32
  - .args:
      - .offset:         0
        .size:           4
        .value_kind:     by_value
      - .actual_access:  read_only
        .address_space:  global
        .offset:         8
        .size:           8
        .value_kind:     global_buffer
      - .actual_access:  read_only
        .address_space:  global
        .offset:         16
        .size:           8
        .value_kind:     global_buffer
      - .actual_access:  read_only
        .address_space:  global
        .offset:         24
        .size:           8
        .value_kind:     global_buffer
      - .actual_access:  write_only
        .address_space:  global
        .offset:         32
        .size:           8
        .value_kind:     global_buffer
      - .actual_access:  write_only
        .address_space:  global
        .offset:         40
        .size:           8
        .value_kind:     global_buffer
    .group_segment_fixed_size: 0
    .kernarg_segment_align: 8
    .kernarg_segment_size: 48
    .language:       OpenCL C
    .language_version:
      - 2
      - 0
    .max_flat_workgroup_size: 512
    .name:           _ZN9rocsparseL22csr2csc_permute_kernelILj512Eii21rocsparse_complex_numIdEEEvT0_PKT1_PKT2_PKS3_PS4_PS7_
    .private_segment_fixed_size: 0
    .sgpr_count:     14
    .sgpr_spill_count: 0
    .symbol:         _ZN9rocsparseL22csr2csc_permute_kernelILj512Eii21rocsparse_complex_numIdEEEvT0_PKT1_PKT2_PKS3_PS4_PS7_.kd
    .uniform_work_group_size: 1
    .uses_dynamic_stack: false
    .vgpr_count:     7
    .vgpr_spill_count: 0
    .wavefront_size: 32
  - .args:
      - .offset:         0
        .size:           8
        .value_kind:     by_value
      - .actual_access:  read_only
        .address_space:  global
        .offset:         8
        .size:           8
        .value_kind:     global_buffer
      - .actual_access:  read_only
        .address_space:  global
        .offset:         16
        .size:           8
        .value_kind:     global_buffer
      - .actual_access:  read_only
        .address_space:  global
        .offset:         24
        .size:           8
        .value_kind:     global_buffer
      - .actual_access:  write_only
        .address_space:  global
        .offset:         32
        .size:           8
        .value_kind:     global_buffer
      - .actual_access:  write_only
        .address_space:  global
        .offset:         40
        .size:           8
        .value_kind:     global_buffer
    .group_segment_fixed_size: 0
    .kernarg_segment_align: 8
    .kernarg_segment_size: 48
    .language:       OpenCL C
    .language_version:
      - 2
      - 0
    .max_flat_workgroup_size: 512
    .name:           _ZN9rocsparseL22csr2csc_permute_kernelILj512Eli21rocsparse_complex_numIdEEEvT0_PKT1_PKT2_PKS3_PS4_PS7_
    .private_segment_fixed_size: 0
    .sgpr_count:     14
    .sgpr_spill_count: 0
    .symbol:         _ZN9rocsparseL22csr2csc_permute_kernelILj512Eli21rocsparse_complex_numIdEEEvT0_PKT1_PKT2_PKS3_PS4_PS7_.kd
    .uniform_work_group_size: 1
    .uses_dynamic_stack: false
    .vgpr_count:     11
    .vgpr_spill_count: 0
    .wavefront_size: 32
  - .args:
      - .offset:         0
        .size:           4
        .value_kind:     by_value
      - .actual_access:  read_only
        .address_space:  global
        .offset:         8
        .size:           8
        .value_kind:     global_buffer
      - .actual_access:  read_only
        .address_space:  global
        .offset:         16
        .size:           8
        .value_kind:     global_buffer
      - .actual_access:  read_only
        .address_space:  global
        .offset:         24
        .size:           8
        .value_kind:     global_buffer
      - .actual_access:  write_only
        .address_space:  global
        .offset:         32
        .size:           8
        .value_kind:     global_buffer
      - .actual_access:  write_only
        .address_space:  global
        .offset:         40
        .size:           8
        .value_kind:     global_buffer
    .group_segment_fixed_size: 0
    .kernarg_segment_align: 8
    .kernarg_segment_size: 48
    .language:       OpenCL C
    .language_version:
      - 2
      - 0
    .max_flat_workgroup_size: 512
    .name:           _ZN9rocsparseL22csr2csc_permute_kernelILj512Eil21rocsparse_complex_numIdEEEvT0_PKT1_PKT2_PKS3_PS4_PS7_
    .private_segment_fixed_size: 0
    .sgpr_count:     14
    .sgpr_spill_count: 0
    .symbol:         _ZN9rocsparseL22csr2csc_permute_kernelILj512Eil21rocsparse_complex_numIdEEEvT0_PKT1_PKT2_PKS3_PS4_PS7_.kd
    .uniform_work_group_size: 1
    .uses_dynamic_stack: false
    .vgpr_count:     8
    .vgpr_spill_count: 0
    .wavefront_size: 32
  - .args:
      - .offset:         0
        .size:           8
        .value_kind:     by_value
      - .actual_access:  read_only
        .address_space:  global
        .offset:         8
        .size:           8
        .value_kind:     global_buffer
      - .actual_access:  read_only
        .address_space:  global
        .offset:         16
        .size:           8
        .value_kind:     global_buffer
      - .actual_access:  read_only
        .address_space:  global
        .offset:         24
        .size:           8
        .value_kind:     global_buffer
      - .actual_access:  write_only
        .address_space:  global
        .offset:         32
        .size:           8
        .value_kind:     global_buffer
      - .actual_access:  write_only
        .address_space:  global
        .offset:         40
        .size:           8
        .value_kind:     global_buffer
    .group_segment_fixed_size: 0
    .kernarg_segment_align: 8
    .kernarg_segment_size: 48
    .language:       OpenCL C
    .language_version:
      - 2
      - 0
    .max_flat_workgroup_size: 512
    .name:           _ZN9rocsparseL22csr2csc_permute_kernelILj512Ell21rocsparse_complex_numIdEEEvT0_PKT1_PKT2_PKS3_PS4_PS7_
    .private_segment_fixed_size: 0
    .sgpr_count:     14
    .sgpr_spill_count: 0
    .symbol:         _ZN9rocsparseL22csr2csc_permute_kernelILj512Ell21rocsparse_complex_numIdEEEvT0_PKT1_PKT2_PKS3_PS4_PS7_.kd
    .uniform_work_group_size: 1
    .uses_dynamic_stack: false
    .vgpr_count:     14
    .vgpr_spill_count: 0
    .wavefront_size: 32
amdhsa.target:   amdgcn-amd-amdhsa--gfx1250
amdhsa.version:
  - 1
  - 2
...

	.end_amdgpu_metadata
